;; amdgpu-corpus repo=llvm/llvm-project kind=harvested arch=n/a opt=n/a
// NOTE: Assertions have been autogenerated by utils/update_mc_test_checks.py UTC_ARGS: --version 5
// RUN: llvm-mc -triple=amdgcn -mcpu=gfx1170 -mattr=-real-true16 -show-encoding %s | FileCheck --check-prefixes=GFX1170 %s
// RUN: llvm-mc -triple=amdgcn -mcpu=gfx1170 -mattr=-real-true16 -show-encoding %s | %extract-encodings | llvm-mc -triple=amdgcn -mcpu=gfx1170 -mattr=-real-true16 -disassemble -show-encoding | FileCheck --strict-whitespace --check-prefixes=GFX1170 %s

v_cvt_pk_fp8_f32 v1, v2, v3
// GFX1170: v_cvt_pk_fp8_f32 v1, v2, v3             ; encoding: [0x01,0x00,0x69,0xd7,0x02,0x07,0x02,0x02]

v_cvt_pk_fp8_f32 v1, -v2, |v3|
// GFX1170: v_cvt_pk_fp8_f32 v1, -v2, |v3|          ; encoding: [0x01,0x02,0x69,0xd7,0x02,0x07,0x02,0x22]

v_cvt_pk_fp8_f32 v1, s2, 3
// GFX1170: v_cvt_pk_fp8_f32 v1, s2, 3              ; encoding: [0x01,0x00,0x69,0xd7,0x02,0x06,0x01,0x02]

v_cvt_pk_bf8_f32 v1, v2, v3
// GFX1170: v_cvt_pk_bf8_f32 v1, v2, v3             ; encoding: [0x01,0x00,0x6a,0xd7,0x02,0x07,0x02,0x02]

v_cvt_pk_bf8_f32 v1, -v2, |v3|
// GFX1170: v_cvt_pk_bf8_f32 v1, -v2, |v3|          ; encoding: [0x01,0x02,0x6a,0xd7,0x02,0x07,0x02,0x22]

v_cvt_pk_bf8_f32 v1, s2, 3
// GFX1170: v_cvt_pk_bf8_f32 v1, s2, 3              ; encoding: [0x01,0x00,0x6a,0xd7,0x02,0x06,0x01,0x02]

v_cvt_sr_fp8_f32 v1, v2, v3
// GFX1170: v_cvt_sr_fp8_f32 v1, v2, v3             ; encoding: [0x01,0x00,0x6b,0xd7,0x02,0x07,0x02,0x02]

v_cvt_sr_fp8_f32 v10, s2, v5
// GFX1170: v_cvt_sr_fp8_f32 v10, s2, v5            ; encoding: [0x0a,0x00,0x6b,0xd7,0x02,0x0a,0x02,0x02]

v_cvt_sr_fp8_f32 v5, -|v255|, v4
// GFX1170: v_cvt_sr_fp8_f32 v5, -|v255|, v4        ; encoding: [0x05,0x01,0x6b,0xd7,0xff,0x09,0x02,0x22]

v_cvt_sr_fp8_f32 v1, v2, v3 byte_sel:0
// GFX1170: v_cvt_sr_fp8_f32 v1, v2, v3             ; encoding: [0x01,0x00,0x6b,0xd7,0x02,0x07,0x02,0x02]

v_cvt_sr_fp8_f32 v1, v2, v3 byte_sel:1
// GFX1170: v_cvt_sr_fp8_f32 v1, v2, v3 byte_sel:1  ; encoding: [0x01,0x20,0x6b,0xd7,0x02,0x07,0x02,0x02]

v_cvt_sr_fp8_f32 v1, v2, v3 byte_sel:2
// GFX1170: v_cvt_sr_fp8_f32 v1, v2, v3 byte_sel:2  ; encoding: [0x01,0x40,0x6b,0xd7,0x02,0x07,0x02,0x02]
	;; [unrolled: 3-line block ×3, first 2 shown]

v_cvt_sr_bf8_f32 v1, v2, v3
// GFX1170: v_cvt_sr_bf8_f32 v1, v2, v3             ; encoding: [0x01,0x00,0x6c,0xd7,0x02,0x07,0x02,0x02]

v_cvt_sr_bf8_f32 v10, s2, v5
// GFX1170: v_cvt_sr_bf8_f32 v10, s2, v5            ; encoding: [0x0a,0x00,0x6c,0xd7,0x02,0x0a,0x02,0x02]

v_cvt_sr_bf8_f32 v5, -|v255|, v4
// GFX1170: v_cvt_sr_bf8_f32 v5, -|v255|, v4        ; encoding: [0x05,0x01,0x6c,0xd7,0xff,0x09,0x02,0x22]

v_cvt_sr_bf8_f32 v1, v2, v3 byte_sel:0
// GFX1170: v_cvt_sr_bf8_f32 v1, v2, v3             ; encoding: [0x01,0x00,0x6c,0xd7,0x02,0x07,0x02,0x02]

v_cvt_sr_bf8_f32 v1, v2, v3 byte_sel:1
// GFX1170: v_cvt_sr_bf8_f32 v1, v2, v3 byte_sel:1  ; encoding: [0x01,0x20,0x6c,0xd7,0x02,0x07,0x02,0x02]

v_cvt_sr_bf8_f32 v1, v2, v3 byte_sel:2
// GFX1170: v_cvt_sr_bf8_f32 v1, v2, v3 byte_sel:2  ; encoding: [0x01,0x40,0x6c,0xd7,0x02,0x07,0x02,0x02]
	;; [unrolled: 3-line block ×3, first 2 shown]

v_max3_num_f16 v5, v1, v2, s3
// GFX1170: v_max3_num_f16 v5, v1, v2, s3           ; encoding: [0x05,0x00,0x4c,0xd6,0x01,0x05,0x0e,0x00]

v_max3_num_f16 v5, v255, s2, s105
// GFX1170: v_max3_num_f16 v5, v255, s2, s105       ; encoding: [0x05,0x00,0x4c,0xd6,0xff,0x05,0xa4,0x01]

v_max3_num_f16 v5, s1, v255, exec_hi
// GFX1170: v_max3_num_f16 v5, s1, v255, exec_hi    ; encoding: [0x05,0x00,0x4c,0xd6,0x01,0xfe,0xff,0x01]

v_max3_num_f16 v5, s105, s105, exec_lo
// GFX1170: v_max3_num_f16 v5, s105, s105, exec_lo  ; encoding: [0x05,0x00,0x4c,0xd6,0x69,0xd2,0xf8,0x01]

v_max3_num_f16 v5, vcc_lo, ttmp15, v3
// GFX1170: v_max3_num_f16 v5, vcc_lo, ttmp15, v3   ; encoding: [0x05,0x00,0x4c,0xd6,0x6a,0xf6,0x0c,0x04]

v_max3_num_f16 v5, vcc_hi, 0xfe0b, v255
// GFX1170: v_max3_num_f16 v5, vcc_hi, 0xfe0b, v255 ; encoding: [0x05,0x00,0x4c,0xd6,0x6b,0xfe,0xfd,0x07,0x0b,0xfe,0x00,0x00]

v_max3_num_f16 v5, -|ttmp15|, -|src_scc|, -|ttmp15|
// GFX1170: v_max3_num_f16 v5, -|ttmp15|, -|src_scc|, -|ttmp15| ; encoding: [0x05,0x07,0x4c,0xd6,0x7b,0xfa,0xed,0xe1]

v_max3_num_f16 v5, m0, 0.5, m0
// GFX1170: v_max3_num_f16 v5, m0, 0.5, m0          ; encoding: [0x05,0x00,0x4c,0xd6,0x7d,0xe0,0xf5,0x01]

v_max3_num_f16 v5, |exec_lo|, -1, vcc_hi
// GFX1170: v_max3_num_f16 v5, |exec_lo|, -1, vcc_hi ; encoding: [0x05,0x01,0x4c,0xd6,0x7e,0x82,0xad,0x01]

v_max3_num_f16 v5, -|exec_hi|, null, -|vcc_lo| op_sel:[1,1,1,1]
// GFX1170: v_max3_num_f16 v5, -|exec_hi|, null, -|vcc_lo| op_sel:[1,1,1,1] ; encoding: [0x05,0x7d,0x4c,0xd6,0x7f,0xf8,0xa8,0xa1]

v_max3_num_f16 v5, null, exec_lo, -|0xfe0b| op_sel:[0,0,0,0]
// GFX1170: v_max3_num_f16 v5, null, exec_lo, -|0xfe0b| ; encoding: [0x05,0x04,0x4c,0xd6,0x7c,0xfc,0xfc,0x83,0x0b,0xfe,0x00,0x00]

v_max3_num_f16 v5, -1, -|exec_hi|, -|src_scc| op_sel:[1,0,0,0]
// GFX1170: v_max3_num_f16 v5, -1, -|exec_hi|, -|src_scc| op_sel:[1,0,0,0] ; encoding: [0x05,0x0e,0x4c,0xd6,0xc1,0xfe,0xf4,0xc3]

v_max3_num_f16 v5, 0.5, -m0, 0.5 op_sel:[0,1,0,0]
// GFX1170: v_max3_num_f16 v5, 0.5, -m0, 0.5 op_sel:[0,1,0,0] ; encoding: [0x05,0x10,0x4c,0xd6,0xf0,0xfa,0xc0,0x43]

v_max3_num_f16 v5, -src_scc, |vcc_lo|, -1 op_sel:[0,0,1,0]
// GFX1170: v_max3_num_f16 v5, -src_scc, |vcc_lo|, -1 op_sel:[0,0,1,0] ; encoding: [0x05,0x22,0x4c,0xd6,0xfd,0xd4,0x04,0x23]

v_max3_num_f16 v255, -|0xfe0b|, -|vcc_hi|, null op_sel:[0,0,0,1] clamp
// GFX1170: v_max3_num_f16 v255, -|0xfe0b|, -|vcc_hi|, null op_sel:[0,0,0,1] clamp ; encoding: [0xff,0xc3,0x4c,0xd6,0xff,0xd6,0xf0,0x61,0x0b,0xfe,0x00,0x00]

v_max3_num_f32 v5, v1, v2, s3
// GFX1170: v_max3_num_f32 v5, v1, v2, s3           ; encoding: [0x05,0x00,0x1c,0xd6,0x01,0x05,0x0e,0x00]

v_max3_num_f32 v5, v255, s2, s105
// GFX1170: v_max3_num_f32 v5, v255, s2, s105       ; encoding: [0x05,0x00,0x1c,0xd6,0xff,0x05,0xa4,0x01]

v_max3_num_f32 v5, s1, v255, exec_hi
// GFX1170: v_max3_num_f32 v5, s1, v255, exec_hi    ; encoding: [0x05,0x00,0x1c,0xd6,0x01,0xfe,0xff,0x01]

v_max3_num_f32 v5, s105, s105, exec_lo
// GFX1170: v_max3_num_f32 v5, s105, s105, exec_lo  ; encoding: [0x05,0x00,0x1c,0xd6,0x69,0xd2,0xf8,0x01]

v_max3_num_f32 v5, vcc_lo, ttmp15, v3
// GFX1170: v_max3_num_f32 v5, vcc_lo, ttmp15, v3   ; encoding: [0x05,0x00,0x1c,0xd6,0x6a,0xf6,0x0c,0x04]

v_max3_num_f32 v5, vcc_hi, 0xaf123456, v255
// GFX1170: v_max3_num_f32 v5, vcc_hi, 0xaf123456, v255 ; encoding: [0x05,0x00,0x1c,0xd6,0x6b,0xfe,0xfd,0x07,0x56,0x34,0x12,0xaf]

v_max3_num_f32 v5, -|ttmp15|, -|src_scc|, -|ttmp15|
// GFX1170: v_max3_num_f32 v5, -|ttmp15|, -|src_scc|, -|ttmp15| ; encoding: [0x05,0x07,0x1c,0xd6,0x7b,0xfa,0xed,0xe1]

v_max3_num_f32 v5, m0, 0.5, m0
// GFX1170: v_max3_num_f32 v5, m0, 0.5, m0          ; encoding: [0x05,0x00,0x1c,0xd6,0x7d,0xe0,0xf5,0x01]

v_max3_num_f32 v5, |exec_lo|, -1, vcc_hi
// GFX1170: v_max3_num_f32 v5, |exec_lo|, -1, vcc_hi ; encoding: [0x05,0x01,0x1c,0xd6,0x7e,0x82,0xad,0x01]

v_max3_num_f32 v5, -|exec_hi|, null, -|vcc_lo|
// GFX1170: v_max3_num_f32 v5, -|exec_hi|, null, -|vcc_lo| ; encoding: [0x05,0x05,0x1c,0xd6,0x7f,0xf8,0xa8,0xa1]

v_max3_num_f32 v5, null, exec_lo, -|0xaf123456|
// GFX1170: v_max3_num_f32 v5, null, exec_lo, -|0xaf123456| ; encoding: [0x05,0x04,0x1c,0xd6,0x7c,0xfc,0xfc,0x83,0x56,0x34,0x12,0xaf]

v_max3_num_f32 v5, -1, -|exec_hi|, -|src_scc|
// GFX1170: v_max3_num_f32 v5, -1, -|exec_hi|, -|src_scc| ; encoding: [0x05,0x06,0x1c,0xd6,0xc1,0xfe,0xf4,0xc3]

v_max3_num_f32 v5, 0.5, -m0, 0.5 mul:2
// GFX1170: v_max3_num_f32 v5, 0.5, -m0, 0.5 mul:2  ; encoding: [0x05,0x00,0x1c,0xd6,0xf0,0xfa,0xc0,0x4b]

v_max3_num_f32 v5, -src_scc, |vcc_lo|, -1 mul:4
// GFX1170: v_max3_num_f32 v5, -src_scc, |vcc_lo|, -1 mul:4 ; encoding: [0x05,0x02,0x1c,0xd6,0xfd,0xd4,0x04,0x33]

v_max3_num_f32 v255, -|0xaf123456|, -|vcc_hi|, null clamp div:2
// GFX1170: v_max3_num_f32 v255, -|0xaf123456|, -|vcc_hi|, null clamp div:2 ; encoding: [0xff,0x83,0x1c,0xd6,0xff,0xd6,0xf0,0x79,0x56,0x34,0x12,0xaf]

v_maxmin_num_f16 v5, v1, v2, s3
// GFX1170: v_maxmin_num_f16 v5, v1, v2, s3         ; encoding: [0x05,0x00,0x60,0xd6,0x01,0x05,0x0e,0x00]

v_maxmin_num_f16 v5, v255, s2, s105
// GFX1170: v_maxmin_num_f16 v5, v255, s2, s105     ; encoding: [0x05,0x00,0x60,0xd6,0xff,0x05,0xa4,0x01]

v_maxmin_num_f16 v5, s1, v255, exec_hi
// GFX1170: v_maxmin_num_f16 v5, s1, v255, exec_hi  ; encoding: [0x05,0x00,0x60,0xd6,0x01,0xfe,0xff,0x01]

v_maxmin_num_f16 v5, s105, s105, exec_lo
// GFX1170: v_maxmin_num_f16 v5, s105, s105, exec_lo ; encoding: [0x05,0x00,0x60,0xd6,0x69,0xd2,0xf8,0x01]

v_maxmin_num_f16 v5, vcc_lo, ttmp15, v3
// GFX1170: v_maxmin_num_f16 v5, vcc_lo, ttmp15, v3 ; encoding: [0x05,0x00,0x60,0xd6,0x6a,0xf6,0x0c,0x04]

v_maxmin_num_f16 v5, vcc_hi, 0xfe0b, v255
// GFX1170: v_maxmin_num_f16 v5, vcc_hi, 0xfe0b, v255 ; encoding: [0x05,0x00,0x60,0xd6,0x6b,0xfe,0xfd,0x07,0x0b,0xfe,0x00,0x00]

v_maxmin_num_f16 v5, -|ttmp15|, -|src_scc|, -|ttmp15|
// GFX1170: v_maxmin_num_f16 v5, -|ttmp15|, -|src_scc|, -|ttmp15| ; encoding: [0x05,0x07,0x60,0xd6,0x7b,0xfa,0xed,0xe1]

v_maxmin_num_f16 v5, m0, 0.5, m0
// GFX1170: v_maxmin_num_f16 v5, m0, 0.5, m0        ; encoding: [0x05,0x00,0x60,0xd6,0x7d,0xe0,0xf5,0x01]

v_maxmin_num_f16 v5, |exec_lo|, -1, vcc_hi
// GFX1170: v_maxmin_num_f16 v5, |exec_lo|, -1, vcc_hi ; encoding: [0x05,0x01,0x60,0xd6,0x7e,0x82,0xad,0x01]

v_maxmin_num_f16 v5, -|exec_hi|, null, -|vcc_lo|
// GFX1170: v_maxmin_num_f16 v5, -|exec_hi|, null, -|vcc_lo| ; encoding: [0x05,0x05,0x60,0xd6,0x7f,0xf8,0xa8,0xa1]

v_maxmin_num_f16 v5, null, exec_lo, -|0xfe0b|
// GFX1170: v_maxmin_num_f16 v5, null, exec_lo, -|0xfe0b| ; encoding: [0x05,0x04,0x60,0xd6,0x7c,0xfc,0xfc,0x83,0x0b,0xfe,0x00,0x00]

v_maxmin_num_f16 v5, -1, -|exec_hi|, -|src_scc|
// GFX1170: v_maxmin_num_f16 v5, -1, -|exec_hi|, -|src_scc| ; encoding: [0x05,0x06,0x60,0xd6,0xc1,0xfe,0xf4,0xc3]

v_maxmin_num_f16 v5, 0.5, -m0, 0.5 mul:2
// GFX1170: v_maxmin_num_f16 v5, 0.5, -m0, 0.5 mul:2 ; encoding: [0x05,0x00,0x60,0xd6,0xf0,0xfa,0xc0,0x4b]

v_maxmin_num_f16 v5, -src_scc, |vcc_lo|, -1 mul:4
// GFX1170: v_maxmin_num_f16 v5, -src_scc, |vcc_lo|, -1 mul:4 ; encoding: [0x05,0x02,0x60,0xd6,0xfd,0xd4,0x04,0x33]

v_maxmin_num_f16 v255, -|0xfe0b|, -|vcc_hi|, null clamp div:2
// GFX1170: v_maxmin_num_f16 v255, -|0xfe0b|, -|vcc_hi|, null clamp div:2 ; encoding: [0xff,0x83,0x60,0xd6,0xff,0xd6,0xf0,0x79,0x0b,0xfe,0x00,0x00]

v_maxmin_num_f32 v5, v1, v2, s3
// GFX1170: v_maxmin_num_f32 v5, v1, v2, s3         ; encoding: [0x05,0x00,0x5e,0xd6,0x01,0x05,0x0e,0x00]

v_maxmin_num_f32 v5, v255, s2, s105
// GFX1170: v_maxmin_num_f32 v5, v255, s2, s105     ; encoding: [0x05,0x00,0x5e,0xd6,0xff,0x05,0xa4,0x01]

v_maxmin_num_f32 v5, s1, v255, exec_hi
// GFX1170: v_maxmin_num_f32 v5, s1, v255, exec_hi  ; encoding: [0x05,0x00,0x5e,0xd6,0x01,0xfe,0xff,0x01]

v_maxmin_num_f32 v5, s105, s105, exec_lo
// GFX1170: v_maxmin_num_f32 v5, s105, s105, exec_lo ; encoding: [0x05,0x00,0x5e,0xd6,0x69,0xd2,0xf8,0x01]

v_maxmin_num_f32 v5, vcc_lo, ttmp15, v3
// GFX1170: v_maxmin_num_f32 v5, vcc_lo, ttmp15, v3 ; encoding: [0x05,0x00,0x5e,0xd6,0x6a,0xf6,0x0c,0x04]

v_maxmin_num_f32 v5, vcc_hi, 0xaf123456, v255
// GFX1170: v_maxmin_num_f32 v5, vcc_hi, 0xaf123456, v255 ; encoding: [0x05,0x00,0x5e,0xd6,0x6b,0xfe,0xfd,0x07,0x56,0x34,0x12,0xaf]

v_maxmin_num_f32 v5, -|ttmp15|, -|src_scc|, -|ttmp15|
// GFX1170: v_maxmin_num_f32 v5, -|ttmp15|, -|src_scc|, -|ttmp15| ; encoding: [0x05,0x07,0x5e,0xd6,0x7b,0xfa,0xed,0xe1]

v_maxmin_num_f32 v5, m0, 0.5, m0
// GFX1170: v_maxmin_num_f32 v5, m0, 0.5, m0        ; encoding: [0x05,0x00,0x5e,0xd6,0x7d,0xe0,0xf5,0x01]

v_maxmin_num_f32 v5, |exec_lo|, -1, vcc_hi
// GFX1170: v_maxmin_num_f32 v5, |exec_lo|, -1, vcc_hi ; encoding: [0x05,0x01,0x5e,0xd6,0x7e,0x82,0xad,0x01]

v_maxmin_num_f32 v5, -|exec_hi|, null, -|vcc_lo|
// GFX1170: v_maxmin_num_f32 v5, -|exec_hi|, null, -|vcc_lo| ; encoding: [0x05,0x05,0x5e,0xd6,0x7f,0xf8,0xa8,0xa1]

v_maxmin_num_f32 v5, null, exec_lo, -|0xaf123456|
// GFX1170: v_maxmin_num_f32 v5, null, exec_lo, -|0xaf123456| ; encoding: [0x05,0x04,0x5e,0xd6,0x7c,0xfc,0xfc,0x83,0x56,0x34,0x12,0xaf]

v_maxmin_num_f32 v5, -1, -|exec_hi|, -|src_scc|
// GFX1170: v_maxmin_num_f32 v5, -1, -|exec_hi|, -|src_scc| ; encoding: [0x05,0x06,0x5e,0xd6,0xc1,0xfe,0xf4,0xc3]

v_maxmin_num_f32 v5, 0.5, -m0, 0.5 mul:2
// GFX1170: v_maxmin_num_f32 v5, 0.5, -m0, 0.5 mul:2 ; encoding: [0x05,0x00,0x5e,0xd6,0xf0,0xfa,0xc0,0x4b]

v_maxmin_num_f32 v5, -src_scc, |vcc_lo|, -1 mul:4
// GFX1170: v_maxmin_num_f32 v5, -src_scc, |vcc_lo|, -1 mul:4 ; encoding: [0x05,0x02,0x5e,0xd6,0xfd,0xd4,0x04,0x33]

v_maxmin_num_f32 v255, -|0xaf123456|, -|vcc_hi|, null clamp div:2
// GFX1170: v_maxmin_num_f32 v255, -|0xaf123456|, -|vcc_hi|, null clamp div:2 ; encoding: [0xff,0x83,0x5e,0xd6,0xff,0xd6,0xf0,0x79,0x56,0x34,0x12,0xaf]

v_med3_num_f16 v5, v1, v2, s3
// GFX1170: v_med3_num_f16 v5, v1, v2, s3           ; encoding: [0x05,0x00,0x32,0xd6,0x01,0x05,0x0e,0x00]

v_med3_num_f16 v5, v255, s2, s105
// GFX1170: v_med3_num_f16 v5, v255, s2, s105       ; encoding: [0x05,0x00,0x32,0xd6,0xff,0x05,0xa4,0x01]

v_med3_num_f16 v5, s1, v255, exec_hi
// GFX1170: v_med3_num_f16 v5, s1, v255, exec_hi    ; encoding: [0x05,0x00,0x32,0xd6,0x01,0xfe,0xff,0x01]

v_med3_num_f16 v5, s105, s105, exec_lo
// GFX1170: v_med3_num_f16 v5, s105, s105, exec_lo  ; encoding: [0x05,0x00,0x32,0xd6,0x69,0xd2,0xf8,0x01]

v_med3_num_f16 v5, vcc_lo, ttmp15, v3
// GFX1170: v_med3_num_f16 v5, vcc_lo, ttmp15, v3   ; encoding: [0x05,0x00,0x32,0xd6,0x6a,0xf6,0x0c,0x04]

v_med3_num_f16 v5, vcc_hi, 0xfe0b, v255
// GFX1170: v_med3_num_f16 v5, vcc_hi, 0xfe0b, v255 ; encoding: [0x05,0x00,0x32,0xd6,0x6b,0xfe,0xfd,0x07,0x0b,0xfe,0x00,0x00]

v_med3_num_f16 v5, -|ttmp15|, -|src_scc|, -|ttmp15|
// GFX1170: v_med3_num_f16 v5, -|ttmp15|, -|src_scc|, -|ttmp15| ; encoding: [0x05,0x07,0x32,0xd6,0x7b,0xfa,0xed,0xe1]

v_med3_num_f16 v5, m0, 0.5, m0
// GFX1170: v_med3_num_f16 v5, m0, 0.5, m0          ; encoding: [0x05,0x00,0x32,0xd6,0x7d,0xe0,0xf5,0x01]

v_med3_num_f16 v5, |exec_lo|, -1, vcc_hi
// GFX1170: v_med3_num_f16 v5, |exec_lo|, -1, vcc_hi ; encoding: [0x05,0x01,0x32,0xd6,0x7e,0x82,0xad,0x01]

v_med3_num_f16 v5, -|exec_hi|, null, -|vcc_lo| op_sel:[1,1,1,1]
// GFX1170: v_med3_num_f16 v5, -|exec_hi|, null, -|vcc_lo| op_sel:[1,1,1,1] ; encoding: [0x05,0x7d,0x32,0xd6,0x7f,0xf8,0xa8,0xa1]

v_med3_num_f16 v5, null, exec_lo, -|0xfe0b| op_sel:[0,0,0,0]
// GFX1170: v_med3_num_f16 v5, null, exec_lo, -|0xfe0b| ; encoding: [0x05,0x04,0x32,0xd6,0x7c,0xfc,0xfc,0x83,0x0b,0xfe,0x00,0x00]

v_med3_num_f16 v5, -1, -|exec_hi|, -|src_scc| op_sel:[1,0,0,0]
// GFX1170: v_med3_num_f16 v5, -1, -|exec_hi|, -|src_scc| op_sel:[1,0,0,0] ; encoding: [0x05,0x0e,0x32,0xd6,0xc1,0xfe,0xf4,0xc3]

v_med3_num_f16 v5, 0.5, -m0, 0.5 op_sel:[0,1,0,0]
// GFX1170: v_med3_num_f16 v5, 0.5, -m0, 0.5 op_sel:[0,1,0,0] ; encoding: [0x05,0x10,0x32,0xd6,0xf0,0xfa,0xc0,0x43]

v_med3_num_f16 v5, -src_scc, |vcc_lo|, -1 op_sel:[0,0,1,0]
// GFX1170: v_med3_num_f16 v5, -src_scc, |vcc_lo|, -1 op_sel:[0,0,1,0] ; encoding: [0x05,0x22,0x32,0xd6,0xfd,0xd4,0x04,0x23]

v_med3_num_f16 v255, -|0xfe0b|, -|vcc_hi|, null op_sel:[0,0,0,1] clamp
// GFX1170: v_med3_num_f16 v255, -|0xfe0b|, -|vcc_hi|, null op_sel:[0,0,0,1] clamp ; encoding: [0xff,0xc3,0x32,0xd6,0xff,0xd6,0xf0,0x61,0x0b,0xfe,0x00,0x00]

v_med3_num_f32 v5, v1, v2, s3
// GFX1170: v_med3_num_f32 v5, v1, v2, s3           ; encoding: [0x05,0x00,0x31,0xd6,0x01,0x05,0x0e,0x00]

v_med3_num_f32 v5, v255, s2, s105
// GFX1170: v_med3_num_f32 v5, v255, s2, s105       ; encoding: [0x05,0x00,0x31,0xd6,0xff,0x05,0xa4,0x01]

v_med3_num_f32 v5, s1, v255, exec_hi
// GFX1170: v_med3_num_f32 v5, s1, v255, exec_hi    ; encoding: [0x05,0x00,0x31,0xd6,0x01,0xfe,0xff,0x01]

v_med3_num_f32 v5, s105, s105, exec_lo
// GFX1170: v_med3_num_f32 v5, s105, s105, exec_lo  ; encoding: [0x05,0x00,0x31,0xd6,0x69,0xd2,0xf8,0x01]

v_med3_num_f32 v5, vcc_lo, ttmp15, v3
// GFX1170: v_med3_num_f32 v5, vcc_lo, ttmp15, v3   ; encoding: [0x05,0x00,0x31,0xd6,0x6a,0xf6,0x0c,0x04]

v_med3_num_f32 v5, vcc_hi, 0xaf123456, v255
// GFX1170: v_med3_num_f32 v5, vcc_hi, 0xaf123456, v255 ; encoding: [0x05,0x00,0x31,0xd6,0x6b,0xfe,0xfd,0x07,0x56,0x34,0x12,0xaf]

v_med3_num_f32 v5, -|ttmp15|, -|src_scc|, -|ttmp15|
// GFX1170: v_med3_num_f32 v5, -|ttmp15|, -|src_scc|, -|ttmp15| ; encoding: [0x05,0x07,0x31,0xd6,0x7b,0xfa,0xed,0xe1]

v_med3_num_f32 v5, m0, 0.5, m0
// GFX1170: v_med3_num_f32 v5, m0, 0.5, m0          ; encoding: [0x05,0x00,0x31,0xd6,0x7d,0xe0,0xf5,0x01]

v_med3_num_f32 v5, |exec_lo|, -1, vcc_hi
// GFX1170: v_med3_num_f32 v5, |exec_lo|, -1, vcc_hi ; encoding: [0x05,0x01,0x31,0xd6,0x7e,0x82,0xad,0x01]

v_med3_num_f32 v5, -|exec_hi|, null, -|vcc_lo|
// GFX1170: v_med3_num_f32 v5, -|exec_hi|, null, -|vcc_lo| ; encoding: [0x05,0x05,0x31,0xd6,0x7f,0xf8,0xa8,0xa1]

v_med3_num_f32 v5, null, exec_lo, -|0xaf123456|
// GFX1170: v_med3_num_f32 v5, null, exec_lo, -|0xaf123456| ; encoding: [0x05,0x04,0x31,0xd6,0x7c,0xfc,0xfc,0x83,0x56,0x34,0x12,0xaf]

v_med3_num_f32 v5, -1, -|exec_hi|, -|src_scc|
// GFX1170: v_med3_num_f32 v5, -1, -|exec_hi|, -|src_scc| ; encoding: [0x05,0x06,0x31,0xd6,0xc1,0xfe,0xf4,0xc3]

v_med3_num_f32 v5, 0.5, -m0, 0.5 mul:2
// GFX1170: v_med3_num_f32 v5, 0.5, -m0, 0.5 mul:2  ; encoding: [0x05,0x00,0x31,0xd6,0xf0,0xfa,0xc0,0x4b]

v_med3_num_f32 v5, -src_scc, |vcc_lo|, -1 mul:4
// GFX1170: v_med3_num_f32 v5, -src_scc, |vcc_lo|, -1 mul:4 ; encoding: [0x05,0x02,0x31,0xd6,0xfd,0xd4,0x04,0x33]

v_med3_num_f32 v255, -|0xaf123456|, -|vcc_hi|, null clamp div:2
// GFX1170: v_med3_num_f32 v255, -|0xaf123456|, -|vcc_hi|, null clamp div:2 ; encoding: [0xff,0x83,0x31,0xd6,0xff,0xd6,0xf0,0x79,0x56,0x34,0x12,0xaf]

v_min3_num_f16 v5, v1, v2, s3
// GFX1170: v_min3_num_f16 v5, v1, v2, s3           ; encoding: [0x05,0x00,0x49,0xd6,0x01,0x05,0x0e,0x00]

v_min3_num_f16 v5, v255, s2, s105
// GFX1170: v_min3_num_f16 v5, v255, s2, s105       ; encoding: [0x05,0x00,0x49,0xd6,0xff,0x05,0xa4,0x01]

v_min3_num_f16 v5, s1, v255, exec_hi
// GFX1170: v_min3_num_f16 v5, s1, v255, exec_hi    ; encoding: [0x05,0x00,0x49,0xd6,0x01,0xfe,0xff,0x01]

v_min3_num_f16 v5, s105, s105, exec_lo
// GFX1170: v_min3_num_f16 v5, s105, s105, exec_lo  ; encoding: [0x05,0x00,0x49,0xd6,0x69,0xd2,0xf8,0x01]

v_min3_num_f16 v5, vcc_lo, ttmp15, v3
// GFX1170: v_min3_num_f16 v5, vcc_lo, ttmp15, v3   ; encoding: [0x05,0x00,0x49,0xd6,0x6a,0xf6,0x0c,0x04]

v_min3_num_f16 v5, vcc_hi, 0xfe0b, v255
// GFX1170: v_min3_num_f16 v5, vcc_hi, 0xfe0b, v255 ; encoding: [0x05,0x00,0x49,0xd6,0x6b,0xfe,0xfd,0x07,0x0b,0xfe,0x00,0x00]

v_min3_num_f16 v5, -|ttmp15|, -|src_scc|, -|ttmp15|
// GFX1170: v_min3_num_f16 v5, -|ttmp15|, -|src_scc|, -|ttmp15| ; encoding: [0x05,0x07,0x49,0xd6,0x7b,0xfa,0xed,0xe1]

v_min3_num_f16 v5, m0, 0.5, m0
// GFX1170: v_min3_num_f16 v5, m0, 0.5, m0          ; encoding: [0x05,0x00,0x49,0xd6,0x7d,0xe0,0xf5,0x01]

v_min3_num_f16 v5, |exec_lo|, -1, vcc_hi
// GFX1170: v_min3_num_f16 v5, |exec_lo|, -1, vcc_hi ; encoding: [0x05,0x01,0x49,0xd6,0x7e,0x82,0xad,0x01]

v_min3_num_f16 v5, -|exec_hi|, null, -|vcc_lo| op_sel:[1,1,1,1]
// GFX1170: v_min3_num_f16 v5, -|exec_hi|, null, -|vcc_lo| op_sel:[1,1,1,1] ; encoding: [0x05,0x7d,0x49,0xd6,0x7f,0xf8,0xa8,0xa1]

v_min3_num_f16 v5, null, exec_lo, -|0xfe0b| op_sel:[0,0,0,0]
// GFX1170: v_min3_num_f16 v5, null, exec_lo, -|0xfe0b| ; encoding: [0x05,0x04,0x49,0xd6,0x7c,0xfc,0xfc,0x83,0x0b,0xfe,0x00,0x00]

v_min3_num_f16 v5, -1, -|exec_hi|, -|src_scc| op_sel:[1,0,0,0]
// GFX1170: v_min3_num_f16 v5, -1, -|exec_hi|, -|src_scc| op_sel:[1,0,0,0] ; encoding: [0x05,0x0e,0x49,0xd6,0xc1,0xfe,0xf4,0xc3]

v_min3_num_f16 v5, 0.5, -m0, 0.5 op_sel:[0,1,0,0]
// GFX1170: v_min3_num_f16 v5, 0.5, -m0, 0.5 op_sel:[0,1,0,0] ; encoding: [0x05,0x10,0x49,0xd6,0xf0,0xfa,0xc0,0x43]

v_min3_num_f16 v5, -src_scc, |vcc_lo|, -1 op_sel:[0,0,1,0]
// GFX1170: v_min3_num_f16 v5, -src_scc, |vcc_lo|, -1 op_sel:[0,0,1,0] ; encoding: [0x05,0x22,0x49,0xd6,0xfd,0xd4,0x04,0x23]

v_min3_num_f16 v255, -|0xfe0b|, -|vcc_hi|, null op_sel:[0,0,0,1] clamp
// GFX1170: v_min3_num_f16 v255, -|0xfe0b|, -|vcc_hi|, null op_sel:[0,0,0,1] clamp ; encoding: [0xff,0xc3,0x49,0xd6,0xff,0xd6,0xf0,0x61,0x0b,0xfe,0x00,0x00]

v_min3_num_f32 v5, v1, v2, s3
// GFX1170: v_min3_num_f32 v5, v1, v2, s3           ; encoding: [0x05,0x00,0x19,0xd6,0x01,0x05,0x0e,0x00]

v_min3_num_f32 v5, v255, s2, s105
// GFX1170: v_min3_num_f32 v5, v255, s2, s105       ; encoding: [0x05,0x00,0x19,0xd6,0xff,0x05,0xa4,0x01]

v_min3_num_f32 v5, s1, v255, exec_hi
// GFX1170: v_min3_num_f32 v5, s1, v255, exec_hi    ; encoding: [0x05,0x00,0x19,0xd6,0x01,0xfe,0xff,0x01]

v_min3_num_f32 v5, s105, s105, exec_lo
// GFX1170: v_min3_num_f32 v5, s105, s105, exec_lo  ; encoding: [0x05,0x00,0x19,0xd6,0x69,0xd2,0xf8,0x01]

v_min3_num_f32 v5, vcc_lo, ttmp15, v3
// GFX1170: v_min3_num_f32 v5, vcc_lo, ttmp15, v3   ; encoding: [0x05,0x00,0x19,0xd6,0x6a,0xf6,0x0c,0x04]

v_min3_num_f32 v5, vcc_hi, 0xaf123456, v255
// GFX1170: v_min3_num_f32 v5, vcc_hi, 0xaf123456, v255 ; encoding: [0x05,0x00,0x19,0xd6,0x6b,0xfe,0xfd,0x07,0x56,0x34,0x12,0xaf]

v_min3_num_f32 v5, -|ttmp15|, -|src_scc|, -|ttmp15|
// GFX1170: v_min3_num_f32 v5, -|ttmp15|, -|src_scc|, -|ttmp15| ; encoding: [0x05,0x07,0x19,0xd6,0x7b,0xfa,0xed,0xe1]

v_min3_num_f32 v5, m0, 0.5, m0
// GFX1170: v_min3_num_f32 v5, m0, 0.5, m0          ; encoding: [0x05,0x00,0x19,0xd6,0x7d,0xe0,0xf5,0x01]

v_min3_num_f32 v5, |exec_lo|, -1, vcc_hi
// GFX1170: v_min3_num_f32 v5, |exec_lo|, -1, vcc_hi ; encoding: [0x05,0x01,0x19,0xd6,0x7e,0x82,0xad,0x01]

v_min3_num_f32 v5, -|exec_hi|, null, -|vcc_lo|
// GFX1170: v_min3_num_f32 v5, -|exec_hi|, null, -|vcc_lo| ; encoding: [0x05,0x05,0x19,0xd6,0x7f,0xf8,0xa8,0xa1]

v_min3_num_f32 v5, null, exec_lo, -|0xaf123456|
// GFX1170: v_min3_num_f32 v5, null, exec_lo, -|0xaf123456| ; encoding: [0x05,0x04,0x19,0xd6,0x7c,0xfc,0xfc,0x83,0x56,0x34,0x12,0xaf]

v_min3_num_f32 v5, -1, -|exec_hi|, -|src_scc|
// GFX1170: v_min3_num_f32 v5, -1, -|exec_hi|, -|src_scc| ; encoding: [0x05,0x06,0x19,0xd6,0xc1,0xfe,0xf4,0xc3]

v_min3_num_f32 v5, 0.5, -m0, 0.5 mul:2
// GFX1170: v_min3_num_f32 v5, 0.5, -m0, 0.5 mul:2  ; encoding: [0x05,0x00,0x19,0xd6,0xf0,0xfa,0xc0,0x4b]

v_min3_num_f32 v5, -src_scc, |vcc_lo|, -1 mul:4
// GFX1170: v_min3_num_f32 v5, -src_scc, |vcc_lo|, -1 mul:4 ; encoding: [0x05,0x02,0x19,0xd6,0xfd,0xd4,0x04,0x33]

v_min3_num_f32 v255, -|0xaf123456|, -|vcc_hi|, null clamp div:2
// GFX1170: v_min3_num_f32 v255, -|0xaf123456|, -|vcc_hi|, null clamp div:2 ; encoding: [0xff,0x83,0x19,0xd6,0xff,0xd6,0xf0,0x79,0x56,0x34,0x12,0xaf]

v_minmax_num_f16 v5, v1, v2, s3
// GFX1170: v_minmax_num_f16 v5, v1, v2, s3         ; encoding: [0x05,0x00,0x61,0xd6,0x01,0x05,0x0e,0x00]

v_minmax_num_f16 v5, v255, s2, s105
// GFX1170: v_minmax_num_f16 v5, v255, s2, s105     ; encoding: [0x05,0x00,0x61,0xd6,0xff,0x05,0xa4,0x01]

v_minmax_num_f16 v5, s1, v255, exec_hi
// GFX1170: v_minmax_num_f16 v5, s1, v255, exec_hi  ; encoding: [0x05,0x00,0x61,0xd6,0x01,0xfe,0xff,0x01]

v_minmax_num_f16 v5, s105, s105, exec_lo
// GFX1170: v_minmax_num_f16 v5, s105, s105, exec_lo ; encoding: [0x05,0x00,0x61,0xd6,0x69,0xd2,0xf8,0x01]

v_minmax_num_f16 v5, vcc_lo, ttmp15, v3
// GFX1170: v_minmax_num_f16 v5, vcc_lo, ttmp15, v3 ; encoding: [0x05,0x00,0x61,0xd6,0x6a,0xf6,0x0c,0x04]

v_minmax_num_f16 v5, vcc_hi, 0xfe0b, v255
// GFX1170: v_minmax_num_f16 v5, vcc_hi, 0xfe0b, v255 ; encoding: [0x05,0x00,0x61,0xd6,0x6b,0xfe,0xfd,0x07,0x0b,0xfe,0x00,0x00]

v_minmax_num_f16 v5, -|ttmp15|, -|src_scc|, -|ttmp15|
// GFX1170: v_minmax_num_f16 v5, -|ttmp15|, -|src_scc|, -|ttmp15| ; encoding: [0x05,0x07,0x61,0xd6,0x7b,0xfa,0xed,0xe1]

v_minmax_num_f16 v5, m0, 0.5, m0
// GFX1170: v_minmax_num_f16 v5, m0, 0.5, m0        ; encoding: [0x05,0x00,0x61,0xd6,0x7d,0xe0,0xf5,0x01]

v_minmax_num_f16 v5, |exec_lo|, -1, vcc_hi
// GFX1170: v_minmax_num_f16 v5, |exec_lo|, -1, vcc_hi ; encoding: [0x05,0x01,0x61,0xd6,0x7e,0x82,0xad,0x01]

v_minmax_num_f16 v5, -|exec_hi|, null, -|vcc_lo|
// GFX1170: v_minmax_num_f16 v5, -|exec_hi|, null, -|vcc_lo| ; encoding: [0x05,0x05,0x61,0xd6,0x7f,0xf8,0xa8,0xa1]

v_minmax_num_f16 v5, null, exec_lo, -|0xfe0b|
// GFX1170: v_minmax_num_f16 v5, null, exec_lo, -|0xfe0b| ; encoding: [0x05,0x04,0x61,0xd6,0x7c,0xfc,0xfc,0x83,0x0b,0xfe,0x00,0x00]

v_minmax_num_f16 v5, -1, -|exec_hi|, -|src_scc|
// GFX1170: v_minmax_num_f16 v5, -1, -|exec_hi|, -|src_scc| ; encoding: [0x05,0x06,0x61,0xd6,0xc1,0xfe,0xf4,0xc3]

v_minmax_num_f16 v5, 0.5, -m0, 0.5 mul:2
// GFX1170: v_minmax_num_f16 v5, 0.5, -m0, 0.5 mul:2 ; encoding: [0x05,0x00,0x61,0xd6,0xf0,0xfa,0xc0,0x4b]

v_minmax_num_f16 v5, -src_scc, |vcc_lo|, -1 mul:4
// GFX1170: v_minmax_num_f16 v5, -src_scc, |vcc_lo|, -1 mul:4 ; encoding: [0x05,0x02,0x61,0xd6,0xfd,0xd4,0x04,0x33]

v_minmax_num_f16 v255, -|0xfe0b|, -|vcc_hi|, null clamp div:2
// GFX1170: v_minmax_num_f16 v255, -|0xfe0b|, -|vcc_hi|, null clamp div:2 ; encoding: [0xff,0x83,0x61,0xd6,0xff,0xd6,0xf0,0x79,0x0b,0xfe,0x00,0x00]

v_minmax_num_f32 v5, v1, v2, s3
// GFX1170: v_minmax_num_f32 v5, v1, v2, s3         ; encoding: [0x05,0x00,0x5f,0xd6,0x01,0x05,0x0e,0x00]

v_minmax_num_f32 v5, v255, s2, s105
// GFX1170: v_minmax_num_f32 v5, v255, s2, s105     ; encoding: [0x05,0x00,0x5f,0xd6,0xff,0x05,0xa4,0x01]

v_minmax_num_f32 v5, s1, v255, exec_hi
// GFX1170: v_minmax_num_f32 v5, s1, v255, exec_hi  ; encoding: [0x05,0x00,0x5f,0xd6,0x01,0xfe,0xff,0x01]

v_minmax_num_f32 v5, s105, s105, exec_lo
// GFX1170: v_minmax_num_f32 v5, s105, s105, exec_lo ; encoding: [0x05,0x00,0x5f,0xd6,0x69,0xd2,0xf8,0x01]

v_minmax_num_f32 v5, vcc_lo, ttmp15, v3
// GFX1170: v_minmax_num_f32 v5, vcc_lo, ttmp15, v3 ; encoding: [0x05,0x00,0x5f,0xd6,0x6a,0xf6,0x0c,0x04]

v_minmax_num_f32 v5, vcc_hi, 0xaf123456, v255
// GFX1170: v_minmax_num_f32 v5, vcc_hi, 0xaf123456, v255 ; encoding: [0x05,0x00,0x5f,0xd6,0x6b,0xfe,0xfd,0x07,0x56,0x34,0x12,0xaf]

v_minmax_num_f32 v5, -|ttmp15|, -|src_scc|, -|ttmp15|
// GFX1170: v_minmax_num_f32 v5, -|ttmp15|, -|src_scc|, -|ttmp15| ; encoding: [0x05,0x07,0x5f,0xd6,0x7b,0xfa,0xed,0xe1]

v_minmax_num_f32 v5, m0, 0.5, m0
// GFX1170: v_minmax_num_f32 v5, m0, 0.5, m0        ; encoding: [0x05,0x00,0x5f,0xd6,0x7d,0xe0,0xf5,0x01]

v_minmax_num_f32 v5, |exec_lo|, -1, vcc_hi
// GFX1170: v_minmax_num_f32 v5, |exec_lo|, -1, vcc_hi ; encoding: [0x05,0x01,0x5f,0xd6,0x7e,0x82,0xad,0x01]

v_minmax_num_f32 v5, -|exec_hi|, null, -|vcc_lo|
// GFX1170: v_minmax_num_f32 v5, -|exec_hi|, null, -|vcc_lo| ; encoding: [0x05,0x05,0x5f,0xd6,0x7f,0xf8,0xa8,0xa1]

v_minmax_num_f32 v5, null, exec_lo, -|0xaf123456|
// GFX1170: v_minmax_num_f32 v5, null, exec_lo, -|0xaf123456| ; encoding: [0x05,0x04,0x5f,0xd6,0x7c,0xfc,0xfc,0x83,0x56,0x34,0x12,0xaf]

v_minmax_num_f32 v5, -1, -|exec_hi|, -|src_scc|
// GFX1170: v_minmax_num_f32 v5, -1, -|exec_hi|, -|src_scc| ; encoding: [0x05,0x06,0x5f,0xd6,0xc1,0xfe,0xf4,0xc3]

v_minmax_num_f32 v5, 0.5, -m0, 0.5 mul:2
// GFX1170: v_minmax_num_f32 v5, 0.5, -m0, 0.5 mul:2 ; encoding: [0x05,0x00,0x5f,0xd6,0xf0,0xfa,0xc0,0x4b]

v_minmax_num_f32 v5, -src_scc, |vcc_lo|, -1 mul:4
// GFX1170: v_minmax_num_f32 v5, -src_scc, |vcc_lo|, -1 mul:4 ; encoding: [0x05,0x02,0x5f,0xd6,0xfd,0xd4,0x04,0x33]

v_minmax_num_f32 v255, -|0xaf123456|, -|vcc_hi|, null clamp div:2
// GFX1170: v_minmax_num_f32 v255, -|0xaf123456|, -|vcc_hi|, null clamp div:2 ; encoding: [0xff,0x83,0x5f,0xd6,0xff,0xd6,0xf0,0x79,0x56,0x34,0x12,0xaf]

v_minimum_f32 v5, v1, v2
// GFX1170: v_minimum_f32 v5, v1, v2                ; encoding: [0x05,0x00,0x65,0xd7,0x01,0x05,0x02,0x02]

v_minimum_f32 v5, v255, v255
// GFX1170: v_minimum_f32 v5, v255, v255            ; encoding: [0x05,0x00,0x65,0xd7,0xff,0xff,0x03,0x02]

v_minimum_f32 v5, s1, s2
// GFX1170: v_minimum_f32 v5, s1, s2                ; encoding: [0x05,0x00,0x65,0xd7,0x01,0x04,0x00,0x02]

v_minimum_f32 v5, s105, s105
// GFX1170: v_minimum_f32 v5, s105, s105            ; encoding: [0x05,0x00,0x65,0xd7,0x69,0xd2,0x00,0x02]

v_minimum_f32 v5, vcc_lo, ttmp15
// GFX1170: v_minimum_f32 v5, vcc_lo, ttmp15        ; encoding: [0x05,0x00,0x65,0xd7,0x6a,0xf6,0x00,0x02]

v_minimum_f32 v5, vcc_hi, 0xaf123456
// GFX1170: v_minimum_f32 v5, vcc_hi, 0xaf123456    ; encoding: [0x05,0x00,0x65,0xd7,0x6b,0xfe,0x01,0x02,0x56,0x34,0x12,0xaf]

v_minimum_f32 v5, ttmp15, src_scc
// GFX1170: v_minimum_f32 v5, ttmp15, src_scc       ; encoding: [0x05,0x00,0x65,0xd7,0x7b,0xfa,0x01,0x02]

v_minimum_f32 v5, m0, 0.5
// GFX1170: v_minimum_f32 v5, m0, 0.5               ; encoding: [0x05,0x00,0x65,0xd7,0x7d,0xe0,0x01,0x02]

v_minimum_f32 v5, exec_lo, -1
// GFX1170: v_minimum_f32 v5, exec_lo, -1           ; encoding: [0x05,0x00,0x65,0xd7,0x7e,0x82,0x01,0x02]

v_minimum_f32 v5, |exec_hi|, null
// GFX1170: v_minimum_f32 v5, |exec_hi|, null       ; encoding: [0x05,0x01,0x65,0xd7,0x7f,0xf8,0x00,0x02]

v_minimum_f32 v5, null, exec_lo
// GFX1170: v_minimum_f32 v5, null, exec_lo         ; encoding: [0x05,0x00,0x65,0xd7,0x7c,0xfc,0x00,0x02]

v_minimum_f32 v5, -1, exec_hi
// GFX1170: v_minimum_f32 v5, -1, exec_hi           ; encoding: [0x05,0x00,0x65,0xd7,0xc1,0xfe,0x00,0x02]

v_minimum_f32 v5, 0.5, -m0
// GFX1170: v_minimum_f32 v5, 0.5, -m0              ; encoding: [0x05,0x00,0x65,0xd7,0xf0,0xfa,0x00,0x42]

v_minimum_f32 v5, -src_scc, |vcc_lo|
// GFX1170: v_minimum_f32 v5, -src_scc, |vcc_lo|    ; encoding: [0x05,0x02,0x65,0xd7,0xfd,0xd4,0x00,0x22]

v_minimum_f32 v255, -|0xaf123456|, -|vcc_hi|
// GFX1170: v_minimum_f32 v255, -|0xaf123456|, -|vcc_hi| ; encoding: [0xff,0x03,0x65,0xd7,0xff,0xd6,0x00,0x62,0x56,0x34,0x12,0xaf]

v_maximum_f32 v5, v1, v2
// GFX1170: v_maximum_f32 v5, v1, v2                ; encoding: [0x05,0x00,0x66,0xd7,0x01,0x05,0x02,0x02]

v_maximum_f32 v5, v255, v255
// GFX1170: v_maximum_f32 v5, v255, v255            ; encoding: [0x05,0x00,0x66,0xd7,0xff,0xff,0x03,0x02]

v_maximum_f32 v5, s1, s2
// GFX1170: v_maximum_f32 v5, s1, s2                ; encoding: [0x05,0x00,0x66,0xd7,0x01,0x04,0x00,0x02]

v_maximum_f32 v5, s105, s105
// GFX1170: v_maximum_f32 v5, s105, s105            ; encoding: [0x05,0x00,0x66,0xd7,0x69,0xd2,0x00,0x02]

v_maximum_f32 v5, vcc_lo, ttmp15
// GFX1170: v_maximum_f32 v5, vcc_lo, ttmp15        ; encoding: [0x05,0x00,0x66,0xd7,0x6a,0xf6,0x00,0x02]

v_maximum_f32 v5, vcc_hi, 0xaf123456
// GFX1170: v_maximum_f32 v5, vcc_hi, 0xaf123456    ; encoding: [0x05,0x00,0x66,0xd7,0x6b,0xfe,0x01,0x02,0x56,0x34,0x12,0xaf]

v_maximum_f32 v5, ttmp15, src_scc
// GFX1170: v_maximum_f32 v5, ttmp15, src_scc       ; encoding: [0x05,0x00,0x66,0xd7,0x7b,0xfa,0x01,0x02]

v_maximum_f32 v5, m0, 0.5
// GFX1170: v_maximum_f32 v5, m0, 0.5               ; encoding: [0x05,0x00,0x66,0xd7,0x7d,0xe0,0x01,0x02]

v_maximum_f32 v5, exec_lo, -1
// GFX1170: v_maximum_f32 v5, exec_lo, -1           ; encoding: [0x05,0x00,0x66,0xd7,0x7e,0x82,0x01,0x02]

v_maximum_f32 v5, |exec_hi|, null
// GFX1170: v_maximum_f32 v5, |exec_hi|, null       ; encoding: [0x05,0x01,0x66,0xd7,0x7f,0xf8,0x00,0x02]

v_maximum_f32 v5, null, exec_lo
// GFX1170: v_maximum_f32 v5, null, exec_lo         ; encoding: [0x05,0x00,0x66,0xd7,0x7c,0xfc,0x00,0x02]

v_maximum_f32 v5, -1, exec_hi
// GFX1170: v_maximum_f32 v5, -1, exec_hi           ; encoding: [0x05,0x00,0x66,0xd7,0xc1,0xfe,0x00,0x02]

v_maximum_f32 v5, 0.5, -m0
// GFX1170: v_maximum_f32 v5, 0.5, -m0              ; encoding: [0x05,0x00,0x66,0xd7,0xf0,0xfa,0x00,0x42]

v_maximum_f32 v5, -src_scc, |vcc_lo|
// GFX1170: v_maximum_f32 v5, -src_scc, |vcc_lo|    ; encoding: [0x05,0x02,0x66,0xd7,0xfd,0xd4,0x00,0x22]

v_maximum_f32 v255, -|0xaf123456|, -|vcc_hi|
// GFX1170: v_maximum_f32 v255, -|0xaf123456|, -|vcc_hi| ; encoding: [0xff,0x03,0x66,0xd7,0xff,0xd6,0x00,0x62,0x56,0x34,0x12,0xaf]

v_minimum_f16 v5, v1, v2
// GFX1170: v_minimum_f16 v5, v1, v2                ; encoding: [0x05,0x00,0x67,0xd7,0x01,0x05,0x02,0x02]

v_minimum_f16 v5, v255, v255
// GFX1170: v_minimum_f16 v5, v255, v255            ; encoding: [0x05,0x00,0x67,0xd7,0xff,0xff,0x03,0x02]

v_minimum_f16 v5, s1, s2
// GFX1170: v_minimum_f16 v5, s1, s2                ; encoding: [0x05,0x00,0x67,0xd7,0x01,0x04,0x00,0x02]

v_minimum_f16 v5, s105, s105
// GFX1170: v_minimum_f16 v5, s105, s105            ; encoding: [0x05,0x00,0x67,0xd7,0x69,0xd2,0x00,0x02]

v_minimum_f16 v5, vcc_lo, ttmp15
// GFX1170: v_minimum_f16 v5, vcc_lo, ttmp15        ; encoding: [0x05,0x00,0x67,0xd7,0x6a,0xf6,0x00,0x02]

v_minimum_f16 v5, vcc_hi, 0xaf12
// GFX1170: v_minimum_f16 v5, vcc_hi, 0xaf12        ; encoding: [0x05,0x00,0x67,0xd7,0x6b,0xfe,0x01,0x02,0x12,0xaf,0x00,0x00]

v_minimum_f16 v5, ttmp15, src_scc
// GFX1170: v_minimum_f16 v5, ttmp15, src_scc       ; encoding: [0x05,0x00,0x67,0xd7,0x7b,0xfa,0x01,0x02]

v_minimum_f16 v5, m0, 0.5
// GFX1170: v_minimum_f16 v5, m0, 0.5               ; encoding: [0x05,0x00,0x67,0xd7,0x7d,0xe0,0x01,0x02]

v_minimum_f16 v5, exec_lo, -1
// GFX1170: v_minimum_f16 v5, exec_lo, -1           ; encoding: [0x05,0x00,0x67,0xd7,0x7e,0x82,0x01,0x02]

v_minimum_f16 v5, |exec_hi|, null
// GFX1170: v_minimum_f16 v5, |exec_hi|, null       ; encoding: [0x05,0x01,0x67,0xd7,0x7f,0xf8,0x00,0x02]

v_minimum_f16 v5, null, exec_lo
// GFX1170: v_minimum_f16 v5, null, exec_lo         ; encoding: [0x05,0x00,0x67,0xd7,0x7c,0xfc,0x00,0x02]

v_minimum_f16 v5, -1, exec_hi
// GFX1170: v_minimum_f16 v5, -1, exec_hi           ; encoding: [0x05,0x00,0x67,0xd7,0xc1,0xfe,0x00,0x02]

v_minimum_f16 v5, 0.5, -m0
// GFX1170: v_minimum_f16 v5, 0.5, -m0              ; encoding: [0x05,0x00,0x67,0xd7,0xf0,0xfa,0x00,0x42]

v_minimum_f16 v5, -src_scc, |vcc_lo|
// GFX1170: v_minimum_f16 v5, -src_scc, |vcc_lo|    ; encoding: [0x05,0x02,0x67,0xd7,0xfd,0xd4,0x00,0x22]

v_minimum_f16 v255, -|0xaf12|, -|vcc_hi|
// GFX1170: v_minimum_f16 v255, -|0xaf12|, -|vcc_hi| ; encoding: [0xff,0x03,0x67,0xd7,0xff,0xd6,0x00,0x62,0x12,0xaf,0x00,0x00]

v_minimum_f16 v205, v201, v200
// GFX1170: v_minimum_f16 v205, v201, v200          ; encoding: [0xcd,0x00,0x67,0xd7,0xc9,0x91,0x03,0x02]

v_maximum_f16 v5, v1, v2
// GFX1170: v_maximum_f16 v5, v1, v2                ; encoding: [0x05,0x00,0x68,0xd7,0x01,0x05,0x02,0x02]

v_maximum_f16 v5, v255, v255
// GFX1170: v_maximum_f16 v5, v255, v255            ; encoding: [0x05,0x00,0x68,0xd7,0xff,0xff,0x03,0x02]

v_maximum_f16 v5, s1, s2
// GFX1170: v_maximum_f16 v5, s1, s2                ; encoding: [0x05,0x00,0x68,0xd7,0x01,0x04,0x00,0x02]

v_maximum_f16 v5, s105, s105
// GFX1170: v_maximum_f16 v5, s105, s105            ; encoding: [0x05,0x00,0x68,0xd7,0x69,0xd2,0x00,0x02]

v_maximum_f16 v5, vcc_lo, ttmp15
// GFX1170: v_maximum_f16 v5, vcc_lo, ttmp15        ; encoding: [0x05,0x00,0x68,0xd7,0x6a,0xf6,0x00,0x02]

v_maximum_f16 v5, vcc_hi, 0xaf12
// GFX1170: v_maximum_f16 v5, vcc_hi, 0xaf12        ; encoding: [0x05,0x00,0x68,0xd7,0x6b,0xfe,0x01,0x02,0x12,0xaf,0x00,0x00]

v_maximum_f16 v5, ttmp15, src_scc
// GFX1170: v_maximum_f16 v5, ttmp15, src_scc       ; encoding: [0x05,0x00,0x68,0xd7,0x7b,0xfa,0x01,0x02]

v_maximum_f16 v5, m0, 0.5
// GFX1170: v_maximum_f16 v5, m0, 0.5               ; encoding: [0x05,0x00,0x68,0xd7,0x7d,0xe0,0x01,0x02]

v_maximum_f16 v5, exec_lo, -1
// GFX1170: v_maximum_f16 v5, exec_lo, -1           ; encoding: [0x05,0x00,0x68,0xd7,0x7e,0x82,0x01,0x02]

v_maximum_f16 v5, |exec_hi|, null
// GFX1170: v_maximum_f16 v5, |exec_hi|, null       ; encoding: [0x05,0x01,0x68,0xd7,0x7f,0xf8,0x00,0x02]

v_maximum_f16 v5, null, exec_lo
// GFX1170: v_maximum_f16 v5, null, exec_lo         ; encoding: [0x05,0x00,0x68,0xd7,0x7c,0xfc,0x00,0x02]

v_maximum_f16 v5, -1, exec_hi
// GFX1170: v_maximum_f16 v5, -1, exec_hi           ; encoding: [0x05,0x00,0x68,0xd7,0xc1,0xfe,0x00,0x02]

v_maximum_f16 v5, 0.5, -m0
// GFX1170: v_maximum_f16 v5, 0.5, -m0              ; encoding: [0x05,0x00,0x68,0xd7,0xf0,0xfa,0x00,0x42]

v_maximum_f16 v5, -src_scc, |vcc_lo|
// GFX1170: v_maximum_f16 v5, -src_scc, |vcc_lo|    ; encoding: [0x05,0x02,0x68,0xd7,0xfd,0xd4,0x00,0x22]

v_maximum_f16 v255, -|0xaf12|, -|vcc_hi|
// GFX1170: v_maximum_f16 v255, -|0xaf12|, -|vcc_hi| ; encoding: [0xff,0x03,0x68,0xd7,0xff,0xd6,0x00,0x62,0x12,0xaf,0x00,0x00]

v_maximum_f16 v205, v201, v200
// GFX1170: v_maximum_f16 v205, v201, v200          ; encoding: [0xcd,0x00,0x68,0xd7,0xc9,0x91,0x03,0x02]

v_minimum_f64 v[5:6], v[1:2], v[3:4]
// GFX1170: v_minimum_f64 v[5:6], v[1:2], v[3:4]    ; encoding: [0x05,0x00,0x41,0xd7,0x01,0x07,0x02,0x02]

v_minimum_f64 v[5:6], v[254:255], v[254:255]
// GFX1170: v_minimum_f64 v[5:6], v[254:255], v[254:255] ; encoding: [0x05,0x00,0x41,0xd7,0xfe,0xfd,0x03,0x02]

v_minimum_f64 v[5:6], s[6:7], s[4:5]
// GFX1170: v_minimum_f64 v[5:6], s[6:7], s[4:5]    ; encoding: [0x05,0x00,0x41,0xd7,0x06,0x08,0x00,0x02]

v_minimum_f64 v[5:6], s[104:105], s[104:105]
// GFX1170: v_minimum_f64 v[5:6], s[104:105], s[104:105] ; encoding: [0x05,0x00,0x41,0xd7,0x68,0xd0,0x00,0x02]

v_minimum_f64 v[5:6], vcc, ttmp[14:15]
// GFX1170: v_minimum_f64 v[5:6], vcc, ttmp[14:15]  ; encoding: [0x05,0x00,0x41,0xd7,0x6a,0xf4,0x00,0x02]

v_minimum_f64 v[5:6], vcc, 0xaf121234
// GFX1170: v_minimum_f64 v[5:6], vcc, 0xaf121234   ; encoding: [0x05,0x00,0x41,0xd7,0x6a,0xfe,0x01,0x02,0x34,0x12,0x12,0xaf]

v_minimum_f64 v[5:6], ttmp[14:15], src_scc
// GFX1170: v_minimum_f64 v[5:6], ttmp[14:15], src_scc ; encoding: [0x05,0x00,0x41,0xd7,0x7a,0xfa,0x01,0x02]

v_minimum_f64 v[5:6], vcc, 0.5
// GFX1170: v_minimum_f64 v[5:6], vcc, 0.5          ; encoding: [0x05,0x00,0x41,0xd7,0x6a,0xe0,0x01,0x02]

v_minimum_f64 v[5:6], exec, -1
// GFX1170: v_minimum_f64 v[5:6], exec, -1          ; encoding: [0x05,0x00,0x41,0xd7,0x7e,0x82,0x01,0x02]

v_minimum_f64 v[5:6], |exec|, null
// GFX1170: v_minimum_f64 v[5:6], |exec|, null      ; encoding: [0x05,0x01,0x41,0xd7,0x7e,0xf8,0x00,0x02]

v_minimum_f64 v[5:6], null, exec
// GFX1170: v_minimum_f64 v[5:6], null, exec        ; encoding: [0x05,0x00,0x41,0xd7,0x7c,0xfc,0x00,0x02]

v_minimum_f64 v[5:6], -1, exec
// GFX1170: v_minimum_f64 v[5:6], -1, exec          ; encoding: [0x05,0x00,0x41,0xd7,0xc1,0xfc,0x00,0x02]

v_minimum_f64 v[5:6], 0.5, -vcc
// GFX1170: v_minimum_f64 v[5:6], 0.5, -vcc         ; encoding: [0x05,0x00,0x41,0xd7,0xf0,0xd4,0x00,0x42]

v_minimum_f64 v[5:6], -src_scc, |vcc|
// GFX1170: v_minimum_f64 v[5:6], -src_scc, |vcc|   ; encoding: [0x05,0x02,0x41,0xd7,0xfd,0xd4,0x00,0x22]

v_minimum_f64 v[254:255], -|2|, -|vcc|
// GFX1170: v_minimum_f64 v[254:255], -|2|, -|vcc|  ; encoding: [0xfe,0x03,0x41,0xd7,0x82,0xd4,0x00,0x62]

v_maximum_f64 v[5:6], v[1:2], v[3:4]
// GFX1170: v_maximum_f64 v[5:6], v[1:2], v[3:4]    ; encoding: [0x05,0x00,0x42,0xd7,0x01,0x07,0x02,0x02]

v_maximum_f64 v[5:6], v[254:255], v[254:255]
// GFX1170: v_maximum_f64 v[5:6], v[254:255], v[254:255] ; encoding: [0x05,0x00,0x42,0xd7,0xfe,0xfd,0x03,0x02]

v_maximum_f64 v[5:6], s[6:7], s[4:5]
// GFX1170: v_maximum_f64 v[5:6], s[6:7], s[4:5]    ; encoding: [0x05,0x00,0x42,0xd7,0x06,0x08,0x00,0x02]

v_maximum_f64 v[5:6], s[104:105], s[104:105]
// GFX1170: v_maximum_f64 v[5:6], s[104:105], s[104:105] ; encoding: [0x05,0x00,0x42,0xd7,0x68,0xd0,0x00,0x02]

v_maximum_f64 v[5:6], vcc, ttmp[14:15]
// GFX1170: v_maximum_f64 v[5:6], vcc, ttmp[14:15]  ; encoding: [0x05,0x00,0x42,0xd7,0x6a,0xf4,0x00,0x02]

v_maximum_f64 v[5:6], vcc, 0xaf121234
// GFX1170: v_maximum_f64 v[5:6], vcc, 0xaf121234   ; encoding: [0x05,0x00,0x42,0xd7,0x6a,0xfe,0x01,0x02,0x34,0x12,0x12,0xaf]

v_maximum_f64 v[5:6], ttmp[14:15], src_scc
// GFX1170: v_maximum_f64 v[5:6], ttmp[14:15], src_scc ; encoding: [0x05,0x00,0x42,0xd7,0x7a,0xfa,0x01,0x02]

v_maximum_f64 v[5:6], vcc, 0.5
// GFX1170: v_maximum_f64 v[5:6], vcc, 0.5          ; encoding: [0x05,0x00,0x42,0xd7,0x6a,0xe0,0x01,0x02]

v_maximum_f64 v[5:6], exec, -1
// GFX1170: v_maximum_f64 v[5:6], exec, -1          ; encoding: [0x05,0x00,0x42,0xd7,0x7e,0x82,0x01,0x02]

v_maximum_f64 v[5:6], |exec|, null
// GFX1170: v_maximum_f64 v[5:6], |exec|, null      ; encoding: [0x05,0x01,0x42,0xd7,0x7e,0xf8,0x00,0x02]

v_maximum_f64 v[5:6], null, exec
// GFX1170: v_maximum_f64 v[5:6], null, exec        ; encoding: [0x05,0x00,0x42,0xd7,0x7c,0xfc,0x00,0x02]

v_maximum_f64 v[5:6], -1, exec
// GFX1170: v_maximum_f64 v[5:6], -1, exec          ; encoding: [0x05,0x00,0x42,0xd7,0xc1,0xfc,0x00,0x02]

v_maximum_f64 v[5:6], 0.5, -vcc
// GFX1170: v_maximum_f64 v[5:6], 0.5, -vcc         ; encoding: [0x05,0x00,0x42,0xd7,0xf0,0xd4,0x00,0x42]

v_maximum_f64 v[5:6], -src_scc, |vcc|
// GFX1170: v_maximum_f64 v[5:6], -src_scc, |vcc|   ; encoding: [0x05,0x02,0x42,0xd7,0xfd,0xd4,0x00,0x22]

v_maximum_f64 v[254:255], -|2|, -|vcc|
// GFX1170: v_maximum_f64 v[254:255], -|2|, -|vcc|  ; encoding: [0xfe,0x03,0x42,0xd7,0x82,0xd4,0x00,0x62]

v_minimum3_f32 v5, v1, v2, s3
// GFX1170: v_minimum3_f32 v5, v1, v2, s3           ; encoding: [0x05,0x00,0x2d,0xd6,0x01,0x05,0x0e,0x00]

v_minimum3_f32 v5, v255, s2, s105
// GFX1170: v_minimum3_f32 v5, v255, s2, s105       ; encoding: [0x05,0x00,0x2d,0xd6,0xff,0x05,0xa4,0x01]

v_minimum3_f32 v5, s1, v255, exec_hi
// GFX1170: v_minimum3_f32 v5, s1, v255, exec_hi    ; encoding: [0x05,0x00,0x2d,0xd6,0x01,0xfe,0xff,0x01]

v_minimum3_f32 v5, s105, s105, exec_lo
// GFX1170: v_minimum3_f32 v5, s105, s105, exec_lo  ; encoding: [0x05,0x00,0x2d,0xd6,0x69,0xd2,0xf8,0x01]

v_minimum3_f32 v5, vcc_lo, ttmp15, v3
// GFX1170: v_minimum3_f32 v5, vcc_lo, ttmp15, v3   ; encoding: [0x05,0x00,0x2d,0xd6,0x6a,0xf6,0x0c,0x04]

v_minimum3_f32 v5, vcc_hi, 0xaf123456, v255
// GFX1170: v_minimum3_f32 v5, vcc_hi, 0xaf123456, v255 ; encoding: [0x05,0x00,0x2d,0xd6,0x6b,0xfe,0xfd,0x07,0x56,0x34,0x12,0xaf]

v_minimum3_f32 v5, -|ttmp15|, -|src_scc|, -|ttmp15|
// GFX1170: v_minimum3_f32 v5, -|ttmp15|, -|src_scc|, -|ttmp15| ; encoding: [0x05,0x07,0x2d,0xd6,0x7b,0xfa,0xed,0xe1]

v_minimum3_f32 v5, m0, 0.5, m0
// GFX1170: v_minimum3_f32 v5, m0, 0.5, m0          ; encoding: [0x05,0x00,0x2d,0xd6,0x7d,0xe0,0xf5,0x01]

v_minimum3_f32 v5, |exec_lo|, -1, vcc_hi
// GFX1170: v_minimum3_f32 v5, |exec_lo|, -1, vcc_hi ; encoding: [0x05,0x01,0x2d,0xd6,0x7e,0x82,0xad,0x01]

v_minimum3_f32 v5, -|exec_hi|, null, -|vcc_lo|
// GFX1170: v_minimum3_f32 v5, -|exec_hi|, null, -|vcc_lo| ; encoding: [0x05,0x05,0x2d,0xd6,0x7f,0xf8,0xa8,0xa1]

v_minimum3_f32 v5, null, exec_lo, -|0xaf123456|
// GFX1170: v_minimum3_f32 v5, null, exec_lo, -|0xaf123456| ; encoding: [0x05,0x04,0x2d,0xd6,0x7c,0xfc,0xfc,0x83,0x56,0x34,0x12,0xaf]

v_minimum3_f32 v5, -1, -|exec_hi|, -|src_scc|
// GFX1170: v_minimum3_f32 v5, -1, -|exec_hi|, -|src_scc| ; encoding: [0x05,0x06,0x2d,0xd6,0xc1,0xfe,0xf4,0xc3]

v_minimum3_f32 v5, 0.5, -m0, 0.5 mul:2
// GFX1170: v_minimum3_f32 v5, 0.5, -m0, 0.5 mul:2  ; encoding: [0x05,0x00,0x2d,0xd6,0xf0,0xfa,0xc0,0x4b]

v_minimum3_f32 v5, -src_scc, |vcc_lo|, -1 mul:4
// GFX1170: v_minimum3_f32 v5, -src_scc, |vcc_lo|, -1 mul:4 ; encoding: [0x05,0x02,0x2d,0xd6,0xfd,0xd4,0x04,0x33]

v_minimum3_f32 v255, -|0xaf123456|, -|vcc_hi|, null clamp div:2
// GFX1170: v_minimum3_f32 v255, -|0xaf123456|, -|vcc_hi|, null clamp div:2 ; encoding: [0xff,0x83,0x2d,0xd6,0xff,0xd6,0xf0,0x79,0x56,0x34,0x12,0xaf]

v_maximum3_f32 v5, v1, v2, s3
// GFX1170: v_maximum3_f32 v5, v1, v2, s3           ; encoding: [0x05,0x00,0x2e,0xd6,0x01,0x05,0x0e,0x00]

v_maximum3_f32 v5, v255, s2, s105
// GFX1170: v_maximum3_f32 v5, v255, s2, s105       ; encoding: [0x05,0x00,0x2e,0xd6,0xff,0x05,0xa4,0x01]

v_maximum3_f32 v5, s1, v255, exec_hi
// GFX1170: v_maximum3_f32 v5, s1, v255, exec_hi    ; encoding: [0x05,0x00,0x2e,0xd6,0x01,0xfe,0xff,0x01]

v_maximum3_f32 v5, s105, s105, exec_lo
// GFX1170: v_maximum3_f32 v5, s105, s105, exec_lo  ; encoding: [0x05,0x00,0x2e,0xd6,0x69,0xd2,0xf8,0x01]

v_maximum3_f32 v5, vcc_lo, ttmp15, v3
// GFX1170: v_maximum3_f32 v5, vcc_lo, ttmp15, v3   ; encoding: [0x05,0x00,0x2e,0xd6,0x6a,0xf6,0x0c,0x04]

v_maximum3_f32 v5, vcc_hi, 0xaf123456, v255
// GFX1170: v_maximum3_f32 v5, vcc_hi, 0xaf123456, v255 ; encoding: [0x05,0x00,0x2e,0xd6,0x6b,0xfe,0xfd,0x07,0x56,0x34,0x12,0xaf]

v_maximum3_f32 v5, -|ttmp15|, -|src_scc|, -|ttmp15|
// GFX1170: v_maximum3_f32 v5, -|ttmp15|, -|src_scc|, -|ttmp15| ; encoding: [0x05,0x07,0x2e,0xd6,0x7b,0xfa,0xed,0xe1]

v_maximum3_f32 v5, m0, 0.5, m0
// GFX1170: v_maximum3_f32 v5, m0, 0.5, m0          ; encoding: [0x05,0x00,0x2e,0xd6,0x7d,0xe0,0xf5,0x01]

v_maximum3_f32 v5, |exec_lo|, -1, vcc_hi
// GFX1170: v_maximum3_f32 v5, |exec_lo|, -1, vcc_hi ; encoding: [0x05,0x01,0x2e,0xd6,0x7e,0x82,0xad,0x01]

v_maximum3_f32 v5, -|exec_hi|, null, -|vcc_lo|
// GFX1170: v_maximum3_f32 v5, -|exec_hi|, null, -|vcc_lo| ; encoding: [0x05,0x05,0x2e,0xd6,0x7f,0xf8,0xa8,0xa1]

v_maximum3_f32 v5, null, exec_lo, -|0xaf123456|
// GFX1170: v_maximum3_f32 v5, null, exec_lo, -|0xaf123456| ; encoding: [0x05,0x04,0x2e,0xd6,0x7c,0xfc,0xfc,0x83,0x56,0x34,0x12,0xaf]

v_maximum3_f32 v5, -1, -|exec_hi|, -|src_scc|
// GFX1170: v_maximum3_f32 v5, -1, -|exec_hi|, -|src_scc| ; encoding: [0x05,0x06,0x2e,0xd6,0xc1,0xfe,0xf4,0xc3]

v_maximum3_f32 v5, 0.5, -m0, 0.5 mul:2
// GFX1170: v_maximum3_f32 v5, 0.5, -m0, 0.5 mul:2  ; encoding: [0x05,0x00,0x2e,0xd6,0xf0,0xfa,0xc0,0x4b]

v_maximum3_f32 v5, -src_scc, |vcc_lo|, -1 mul:4
// GFX1170: v_maximum3_f32 v5, -src_scc, |vcc_lo|, -1 mul:4 ; encoding: [0x05,0x02,0x2e,0xd6,0xfd,0xd4,0x04,0x33]

v_maximum3_f32 v255, -|0xaf123456|, -|vcc_hi|, null clamp div:2
// GFX1170: v_maximum3_f32 v255, -|0xaf123456|, -|vcc_hi|, null clamp div:2 ; encoding: [0xff,0x83,0x2e,0xd6,0xff,0xd6,0xf0,0x79,0x56,0x34,0x12,0xaf]

v_minimum3_f16 v5, v1, v2, s3
// GFX1170: v_minimum3_f16 v5, v1, v2, s3           ; encoding: [0x05,0x00,0x2f,0xd6,0x01,0x05,0x0e,0x00]

v_minimum3_f16 v5, v255, s2, s105
// GFX1170: v_minimum3_f16 v5, v255, s2, s105       ; encoding: [0x05,0x00,0x2f,0xd6,0xff,0x05,0xa4,0x01]

v_minimum3_f16 v5, s1, v255, exec_hi
// GFX1170: v_minimum3_f16 v5, s1, v255, exec_hi    ; encoding: [0x05,0x00,0x2f,0xd6,0x01,0xfe,0xff,0x01]

v_minimum3_f16 v5, s105, s105, exec_lo
// GFX1170: v_minimum3_f16 v5, s105, s105, exec_lo  ; encoding: [0x05,0x00,0x2f,0xd6,0x69,0xd2,0xf8,0x01]

v_minimum3_f16 v5, vcc_lo, ttmp15, v3
// GFX1170: v_minimum3_f16 v5, vcc_lo, ttmp15, v3   ; encoding: [0x05,0x00,0x2f,0xd6,0x6a,0xf6,0x0c,0x04]

v_minimum3_f16 v5, vcc_hi, 0xaf12, v255
// GFX1170: v_minimum3_f16 v5, vcc_hi, 0xaf12, v255 ; encoding: [0x05,0x00,0x2f,0xd6,0x6b,0xfe,0xfd,0x07,0x12,0xaf,0x00,0x00]

v_minimum3_f16 v5, -|ttmp15|, -|src_scc|, -|ttmp15|
// GFX1170: v_minimum3_f16 v5, -|ttmp15|, -|src_scc|, -|ttmp15| ; encoding: [0x05,0x07,0x2f,0xd6,0x7b,0xfa,0xed,0xe1]

v_minimum3_f16 v5, m0, 0.5, m0
// GFX1170: v_minimum3_f16 v5, m0, 0.5, m0          ; encoding: [0x05,0x00,0x2f,0xd6,0x7d,0xe0,0xf5,0x01]

v_minimum3_f16 v5, |exec_lo|, -1, vcc_hi
// GFX1170: v_minimum3_f16 v5, |exec_lo|, -1, vcc_hi ; encoding: [0x05,0x01,0x2f,0xd6,0x7e,0x82,0xad,0x01]

v_minimum3_f16 v5, -|exec_hi|, null, -|vcc_lo|
// GFX1170: v_minimum3_f16 v5, -|exec_hi|, null, -|vcc_lo| ; encoding: [0x05,0x05,0x2f,0xd6,0x7f,0xf8,0xa8,0xa1]

v_minimum3_f16 v5, null, exec_lo, -|0xaf12|
// GFX1170: v_minimum3_f16 v5, null, exec_lo, -|0xaf12| ; encoding: [0x05,0x04,0x2f,0xd6,0x7c,0xfc,0xfc,0x83,0x12,0xaf,0x00,0x00]

v_minimum3_f16 v5, -1, -|exec_hi|, -|src_scc|
// GFX1170: v_minimum3_f16 v5, -1, -|exec_hi|, -|src_scc| ; encoding: [0x05,0x06,0x2f,0xd6,0xc1,0xfe,0xf4,0xc3]

v_minimum3_f16 v5, 0.5, -m0, 0.5
// GFX1170: v_minimum3_f16 v5, 0.5, -m0, 0.5        ; encoding: [0x05,0x00,0x2f,0xd6,0xf0,0xfa,0xc0,0x43]

v_minimum3_f16 v5, -src_scc, |vcc_lo|, -1
// GFX1170: v_minimum3_f16 v5, -src_scc, |vcc_lo|, -1 ; encoding: [0x05,0x02,0x2f,0xd6,0xfd,0xd4,0x04,0x23]

v_minimum3_f16 v255, -|0xaf12|, -|vcc_hi|, null clamp
// GFX1170: v_minimum3_f16 v255, -|0xaf12|, -|vcc_hi|, null clamp ; encoding: [0xff,0x83,0x2f,0xd6,0xff,0xd6,0xf0,0x61,0x12,0xaf,0x00,0x00]

v_maximum3_f16 v5, v1, v2, s3
// GFX1170: v_maximum3_f16 v5, v1, v2, s3           ; encoding: [0x05,0x00,0x30,0xd6,0x01,0x05,0x0e,0x00]

v_maximum3_f16 v5, v255, s2, s105
// GFX1170: v_maximum3_f16 v5, v255, s2, s105       ; encoding: [0x05,0x00,0x30,0xd6,0xff,0x05,0xa4,0x01]

v_maximum3_f16 v5, s1, v255, exec_hi
// GFX1170: v_maximum3_f16 v5, s1, v255, exec_hi    ; encoding: [0x05,0x00,0x30,0xd6,0x01,0xfe,0xff,0x01]

v_maximum3_f16 v5, s105, s105, exec_lo
// GFX1170: v_maximum3_f16 v5, s105, s105, exec_lo  ; encoding: [0x05,0x00,0x30,0xd6,0x69,0xd2,0xf8,0x01]

v_maximum3_f16 v5, vcc_lo, ttmp15, v3
// GFX1170: v_maximum3_f16 v5, vcc_lo, ttmp15, v3   ; encoding: [0x05,0x00,0x30,0xd6,0x6a,0xf6,0x0c,0x04]

v_maximum3_f16 v5, vcc_hi, 0xaf12, v255
// GFX1170: v_maximum3_f16 v5, vcc_hi, 0xaf12, v255 ; encoding: [0x05,0x00,0x30,0xd6,0x6b,0xfe,0xfd,0x07,0x12,0xaf,0x00,0x00]

v_maximum3_f16 v5, -|ttmp15|, -|src_scc|, -|ttmp15|
// GFX1170: v_maximum3_f16 v5, -|ttmp15|, -|src_scc|, -|ttmp15| ; encoding: [0x05,0x07,0x30,0xd6,0x7b,0xfa,0xed,0xe1]

v_maximum3_f16 v5, m0, 0.5, m0
// GFX1170: v_maximum3_f16 v5, m0, 0.5, m0          ; encoding: [0x05,0x00,0x30,0xd6,0x7d,0xe0,0xf5,0x01]

v_maximum3_f16 v5, |exec_lo|, -1, vcc_hi
// GFX1170: v_maximum3_f16 v5, |exec_lo|, -1, vcc_hi ; encoding: [0x05,0x01,0x30,0xd6,0x7e,0x82,0xad,0x01]

v_maximum3_f16 v5, -|exec_hi|, null, -|vcc_lo|
// GFX1170: v_maximum3_f16 v5, -|exec_hi|, null, -|vcc_lo| ; encoding: [0x05,0x05,0x30,0xd6,0x7f,0xf8,0xa8,0xa1]

v_maximum3_f16 v5, null, exec_lo, -|0xaf12|
// GFX1170: v_maximum3_f16 v5, null, exec_lo, -|0xaf12| ; encoding: [0x05,0x04,0x30,0xd6,0x7c,0xfc,0xfc,0x83,0x12,0xaf,0x00,0x00]

v_maximum3_f16 v5, -1, -|exec_hi|, -|src_scc|
// GFX1170: v_maximum3_f16 v5, -1, -|exec_hi|, -|src_scc| ; encoding: [0x05,0x06,0x30,0xd6,0xc1,0xfe,0xf4,0xc3]

v_maximum3_f16 v5, 0.5, -m0, 0.5
// GFX1170: v_maximum3_f16 v5, 0.5, -m0, 0.5        ; encoding: [0x05,0x00,0x30,0xd6,0xf0,0xfa,0xc0,0x43]

v_maximum3_f16 v5, -src_scc, |vcc_lo|, -1
// GFX1170: v_maximum3_f16 v5, -src_scc, |vcc_lo|, -1 ; encoding: [0x05,0x02,0x30,0xd6,0xfd,0xd4,0x04,0x23]

v_maximumminimum_f32 v5, v1, v2, s3
// GFX1170: v_maximumminimum_f32 v5, v1, v2, s3     ; encoding: [0x05,0x00,0x6d,0xd6,0x01,0x05,0x0e,0x00]

v_maximumminimum_f32 v5, v255, s2, s105
// GFX1170: v_maximumminimum_f32 v5, v255, s2, s105 ; encoding: [0x05,0x00,0x6d,0xd6,0xff,0x05,0xa4,0x01]

v_maximumminimum_f32 v5, s1, v255, exec_hi
// GFX1170: v_maximumminimum_f32 v5, s1, v255, exec_hi ; encoding: [0x05,0x00,0x6d,0xd6,0x01,0xfe,0xff,0x01]

v_maximumminimum_f32 v5, s105, s105, exec_lo
// GFX1170: v_maximumminimum_f32 v5, s105, s105, exec_lo ; encoding: [0x05,0x00,0x6d,0xd6,0x69,0xd2,0xf8,0x01]

v_maximumminimum_f32 v5, vcc_lo, ttmp15, v3
// GFX1170: v_maximumminimum_f32 v5, vcc_lo, ttmp15, v3 ; encoding: [0x05,0x00,0x6d,0xd6,0x6a,0xf6,0x0c,0x04]

v_maximumminimum_f32 v5, vcc_hi, 0xaf123456, v255
// GFX1170: v_maximumminimum_f32 v5, vcc_hi, 0xaf123456, v255 ; encoding: [0x05,0x00,0x6d,0xd6,0x6b,0xfe,0xfd,0x07,0x56,0x34,0x12,0xaf]

v_maximumminimum_f32 v5, -|ttmp15|, -|src_scc|, -|ttmp15|
// GFX1170: v_maximumminimum_f32 v5, -|ttmp15|, -|src_scc|, -|ttmp15| ; encoding: [0x05,0x07,0x6d,0xd6,0x7b,0xfa,0xed,0xe1]

v_maximumminimum_f32 v5, m0, 0.5, m0
// GFX1170: v_maximumminimum_f32 v5, m0, 0.5, m0    ; encoding: [0x05,0x00,0x6d,0xd6,0x7d,0xe0,0xf5,0x01]

v_maximumminimum_f32 v5, |exec_lo|, -1, vcc_hi
// GFX1170: v_maximumminimum_f32 v5, |exec_lo|, -1, vcc_hi ; encoding: [0x05,0x01,0x6d,0xd6,0x7e,0x82,0xad,0x01]

v_maximumminimum_f32 v5, -|exec_hi|, null, -|vcc_lo|
// GFX1170: v_maximumminimum_f32 v5, -|exec_hi|, null, -|vcc_lo| ; encoding: [0x05,0x05,0x6d,0xd6,0x7f,0xf8,0xa8,0xa1]

v_maximumminimum_f32 v5, null, exec_lo, -|0xaf123456|
// GFX1170: v_maximumminimum_f32 v5, null, exec_lo, -|0xaf123456| ; encoding: [0x05,0x04,0x6d,0xd6,0x7c,0xfc,0xfc,0x83,0x56,0x34,0x12,0xaf]

v_maximumminimum_f32 v5, -1, -|exec_hi|, -|src_scc|
// GFX1170: v_maximumminimum_f32 v5, -1, -|exec_hi|, -|src_scc| ; encoding: [0x05,0x06,0x6d,0xd6,0xc1,0xfe,0xf4,0xc3]

v_maximumminimum_f32 v5, 0.5, -m0, 0.5 mul:2
// GFX1170: v_maximumminimum_f32 v5, 0.5, -m0, 0.5 mul:2 ; encoding: [0x05,0x00,0x6d,0xd6,0xf0,0xfa,0xc0,0x4b]

v_maximumminimum_f32 v5, -src_scc, |vcc_lo|, -1 mul:4
// GFX1170: v_maximumminimum_f32 v5, -src_scc, |vcc_lo|, -1 mul:4 ; encoding: [0x05,0x02,0x6d,0xd6,0xfd,0xd4,0x04,0x33]

v_maximumminimum_f32 v255, -|0xaf123456|, -|vcc_hi|, null clamp div:2
// GFX1170: v_maximumminimum_f32 v255, -|0xaf123456|, -|vcc_hi|, null clamp div:2 ; encoding: [0xff,0x83,0x6d,0xd6,0xff,0xd6,0xf0,0x79,0x56,0x34,0x12,0xaf]

v_minimummaximum_f32 v5, v1, v2, s3
// GFX1170: v_minimummaximum_f32 v5, v1, v2, s3     ; encoding: [0x05,0x00,0x6c,0xd6,0x01,0x05,0x0e,0x00]

v_minimummaximum_f32 v5, v255, s2, s105
// GFX1170: v_minimummaximum_f32 v5, v255, s2, s105 ; encoding: [0x05,0x00,0x6c,0xd6,0xff,0x05,0xa4,0x01]

v_minimummaximum_f32 v5, s1, v255, exec_hi
// GFX1170: v_minimummaximum_f32 v5, s1, v255, exec_hi ; encoding: [0x05,0x00,0x6c,0xd6,0x01,0xfe,0xff,0x01]

v_minimummaximum_f32 v5, s105, s105, exec_lo
// GFX1170: v_minimummaximum_f32 v5, s105, s105, exec_lo ; encoding: [0x05,0x00,0x6c,0xd6,0x69,0xd2,0xf8,0x01]

v_minimummaximum_f32 v5, vcc_lo, ttmp15, v3
// GFX1170: v_minimummaximum_f32 v5, vcc_lo, ttmp15, v3 ; encoding: [0x05,0x00,0x6c,0xd6,0x6a,0xf6,0x0c,0x04]

v_minimummaximum_f32 v5, vcc_hi, 0xaf123456, v255
// GFX1170: v_minimummaximum_f32 v5, vcc_hi, 0xaf123456, v255 ; encoding: [0x05,0x00,0x6c,0xd6,0x6b,0xfe,0xfd,0x07,0x56,0x34,0x12,0xaf]

v_minimummaximum_f32 v5, -|ttmp15|, -|src_scc|, -|ttmp15|
// GFX1170: v_minimummaximum_f32 v5, -|ttmp15|, -|src_scc|, -|ttmp15| ; encoding: [0x05,0x07,0x6c,0xd6,0x7b,0xfa,0xed,0xe1]

v_minimummaximum_f32 v5, m0, 0.5, m0
// GFX1170: v_minimummaximum_f32 v5, m0, 0.5, m0    ; encoding: [0x05,0x00,0x6c,0xd6,0x7d,0xe0,0xf5,0x01]

v_minimummaximum_f32 v5, |exec_lo|, -1, vcc_hi
// GFX1170: v_minimummaximum_f32 v5, |exec_lo|, -1, vcc_hi ; encoding: [0x05,0x01,0x6c,0xd6,0x7e,0x82,0xad,0x01]

v_minimummaximum_f32 v5, -|exec_hi|, null, -|vcc_lo|
// GFX1170: v_minimummaximum_f32 v5, -|exec_hi|, null, -|vcc_lo| ; encoding: [0x05,0x05,0x6c,0xd6,0x7f,0xf8,0xa8,0xa1]

v_minimummaximum_f32 v5, null, exec_lo, -|0xaf123456|
// GFX1170: v_minimummaximum_f32 v5, null, exec_lo, -|0xaf123456| ; encoding: [0x05,0x04,0x6c,0xd6,0x7c,0xfc,0xfc,0x83,0x56,0x34,0x12,0xaf]

v_minimummaximum_f32 v5, -1, -|exec_hi|, -|src_scc|
// GFX1170: v_minimummaximum_f32 v5, -1, -|exec_hi|, -|src_scc| ; encoding: [0x05,0x06,0x6c,0xd6,0xc1,0xfe,0xf4,0xc3]

v_minimummaximum_f32 v5, 0.5, -m0, 0.5 mul:2
// GFX1170: v_minimummaximum_f32 v5, 0.5, -m0, 0.5 mul:2 ; encoding: [0x05,0x00,0x6c,0xd6,0xf0,0xfa,0xc0,0x4b]

v_minimummaximum_f32 v5, -src_scc, |vcc_lo|, -1 mul:4
// GFX1170: v_minimummaximum_f32 v5, -src_scc, |vcc_lo|, -1 mul:4 ; encoding: [0x05,0x02,0x6c,0xd6,0xfd,0xd4,0x04,0x33]

v_minimummaximum_f32 v255, -|0xaf123456|, -|vcc_hi|, null clamp div:2
// GFX1170: v_minimummaximum_f32 v255, -|0xaf123456|, -|vcc_hi|, null clamp div:2 ; encoding: [0xff,0x83,0x6c,0xd6,0xff,0xd6,0xf0,0x79,0x56,0x34,0x12,0xaf]

v_maximumminimum_f16 v5, v1, v2, s3
// GFX1170: v_maximumminimum_f16 v5, v1, v2, s3     ; encoding: [0x05,0x00,0x6f,0xd6,0x01,0x05,0x0e,0x00]

v_maximumminimum_f16 v5, v255, s2, s105
// GFX1170: v_maximumminimum_f16 v5, v255, s2, s105 ; encoding: [0x05,0x00,0x6f,0xd6,0xff,0x05,0xa4,0x01]

v_maximumminimum_f16 v5, s1, v255, exec_hi
// GFX1170: v_maximumminimum_f16 v5, s1, v255, exec_hi ; encoding: [0x05,0x00,0x6f,0xd6,0x01,0xfe,0xff,0x01]

v_maximumminimum_f16 v5, s105, s105, exec_lo
// GFX1170: v_maximumminimum_f16 v5, s105, s105, exec_lo ; encoding: [0x05,0x00,0x6f,0xd6,0x69,0xd2,0xf8,0x01]

v_maximumminimum_f16 v5, vcc_lo, ttmp15, v3
// GFX1170: v_maximumminimum_f16 v5, vcc_lo, ttmp15, v3 ; encoding: [0x05,0x00,0x6f,0xd6,0x6a,0xf6,0x0c,0x04]

v_maximumminimum_f16 v5, vcc_hi, 0xaf12, v255
// GFX1170: v_maximumminimum_f16 v5, vcc_hi, 0xaf12, v255 ; encoding: [0x05,0x00,0x6f,0xd6,0x6b,0xfe,0xfd,0x07,0x12,0xaf,0x00,0x00]

v_maximumminimum_f16 v5, -|ttmp15|, -|src_scc|, -|ttmp15|
// GFX1170: v_maximumminimum_f16 v5, -|ttmp15|, -|src_scc|, -|ttmp15| ; encoding: [0x05,0x07,0x6f,0xd6,0x7b,0xfa,0xed,0xe1]

v_maximumminimum_f16 v5, m0, 0.5, m0
// GFX1170: v_maximumminimum_f16 v5, m0, 0.5, m0    ; encoding: [0x05,0x00,0x6f,0xd6,0x7d,0xe0,0xf5,0x01]

v_maximumminimum_f16 v5, |exec_lo|, -1, vcc_hi
// GFX1170: v_maximumminimum_f16 v5, |exec_lo|, -1, vcc_hi ; encoding: [0x05,0x01,0x6f,0xd6,0x7e,0x82,0xad,0x01]

v_maximumminimum_f16 v5, -|exec_hi|, null, -|vcc_lo|
// GFX1170: v_maximumminimum_f16 v5, -|exec_hi|, null, -|vcc_lo| ; encoding: [0x05,0x05,0x6f,0xd6,0x7f,0xf8,0xa8,0xa1]

v_maximumminimum_f16 v5, null, exec_lo, -|0xaf12|
// GFX1170: v_maximumminimum_f16 v5, null, exec_lo, -|0xaf12| ; encoding: [0x05,0x04,0x6f,0xd6,0x7c,0xfc,0xfc,0x83,0x12,0xaf,0x00,0x00]

v_maximumminimum_f16 v5, -1, -|exec_hi|, -|src_scc|
// GFX1170: v_maximumminimum_f16 v5, -1, -|exec_hi|, -|src_scc| ; encoding: [0x05,0x06,0x6f,0xd6,0xc1,0xfe,0xf4,0xc3]

v_maximumminimum_f16 v5, 0.5, -m0, 0.5
// GFX1170: v_maximumminimum_f16 v5, 0.5, -m0, 0.5  ; encoding: [0x05,0x00,0x6f,0xd6,0xf0,0xfa,0xc0,0x43]

v_maximumminimum_f16 v5, -src_scc, |vcc_lo|, -1
// GFX1170: v_maximumminimum_f16 v5, -src_scc, |vcc_lo|, -1 ; encoding: [0x05,0x02,0x6f,0xd6,0xfd,0xd4,0x04,0x23]

v_maximumminimum_f16 v255, -|0xaf12|, -|vcc_hi|, null clamp
// GFX1170: v_maximumminimum_f16 v255, -|0xaf12|, -|vcc_hi|, null clamp ; encoding: [0xff,0x83,0x6f,0xd6,0xff,0xd6,0xf0,0x61,0x12,0xaf,0x00,0x00]

v_minimummaximum_f16 v5, v1, v2, s3
// GFX1170: v_minimummaximum_f16 v5, v1, v2, s3     ; encoding: [0x05,0x00,0x6e,0xd6,0x01,0x05,0x0e,0x00]

v_minimummaximum_f16 v5, v255, s2, s105
// GFX1170: v_minimummaximum_f16 v5, v255, s2, s105 ; encoding: [0x05,0x00,0x6e,0xd6,0xff,0x05,0xa4,0x01]

v_minimummaximum_f16 v5, s1, v255, exec_hi
// GFX1170: v_minimummaximum_f16 v5, s1, v255, exec_hi ; encoding: [0x05,0x00,0x6e,0xd6,0x01,0xfe,0xff,0x01]

v_minimummaximum_f16 v5, s105, s105, exec_lo
// GFX1170: v_minimummaximum_f16 v5, s105, s105, exec_lo ; encoding: [0x05,0x00,0x6e,0xd6,0x69,0xd2,0xf8,0x01]

v_minimummaximum_f16 v5, vcc_lo, ttmp15, v3
// GFX1170: v_minimummaximum_f16 v5, vcc_lo, ttmp15, v3 ; encoding: [0x05,0x00,0x6e,0xd6,0x6a,0xf6,0x0c,0x04]

v_minimummaximum_f16 v5, vcc_hi, 0xaf12, v255
// GFX1170: v_minimummaximum_f16 v5, vcc_hi, 0xaf12, v255 ; encoding: [0x05,0x00,0x6e,0xd6,0x6b,0xfe,0xfd,0x07,0x12,0xaf,0x00,0x00]

v_minimummaximum_f16 v5, -|ttmp15|, -|src_scc|, -|ttmp15|
// GFX1170: v_minimummaximum_f16 v5, -|ttmp15|, -|src_scc|, -|ttmp15| ; encoding: [0x05,0x07,0x6e,0xd6,0x7b,0xfa,0xed,0xe1]

v_minimummaximum_f16 v5, m0, 0.5, m0
// GFX1170: v_minimummaximum_f16 v5, m0, 0.5, m0    ; encoding: [0x05,0x00,0x6e,0xd6,0x7d,0xe0,0xf5,0x01]

v_minimummaximum_f16 v5, |exec_lo|, -1, vcc_hi
// GFX1170: v_minimummaximum_f16 v5, |exec_lo|, -1, vcc_hi ; encoding: [0x05,0x01,0x6e,0xd6,0x7e,0x82,0xad,0x01]

v_minimummaximum_f16 v5, -|exec_hi|, null, -|vcc_lo|
// GFX1170: v_minimummaximum_f16 v5, -|exec_hi|, null, -|vcc_lo| ; encoding: [0x05,0x05,0x6e,0xd6,0x7f,0xf8,0xa8,0xa1]

v_minimummaximum_f16 v5, null, exec_lo, -|0xaf12|
// GFX1170: v_minimummaximum_f16 v5, null, exec_lo, -|0xaf12| ; encoding: [0x05,0x04,0x6e,0xd6,0x7c,0xfc,0xfc,0x83,0x12,0xaf,0x00,0x00]

v_minimummaximum_f16 v5, -1, -|exec_hi|, -|src_scc|
// GFX1170: v_minimummaximum_f16 v5, -1, -|exec_hi|, -|src_scc| ; encoding: [0x05,0x06,0x6e,0xd6,0xc1,0xfe,0xf4,0xc3]

v_minimummaximum_f16 v5, 0.5, -m0, 0.5
// GFX1170: v_minimummaximum_f16 v5, 0.5, -m0, 0.5  ; encoding: [0x05,0x00,0x6e,0xd6,0xf0,0xfa,0xc0,0x43]

v_minimummaximum_f16 v5, -src_scc, |vcc_lo|, -1
// GFX1170: v_minimummaximum_f16 v5, -src_scc, |vcc_lo|, -1 ; encoding: [0x05,0x02,0x6e,0xd6,0xfd,0xd4,0x04,0x23]
